;; amdgpu-corpus repo=ROCm/rocFFT kind=compiled arch=gfx1100 opt=O3
	.text
	.amdgcn_target "amdgcn-amd-amdhsa--gfx1100"
	.amdhsa_code_object_version 6
	.protected	bluestein_single_back_len1008_dim1_dp_op_CI_CI ; -- Begin function bluestein_single_back_len1008_dim1_dp_op_CI_CI
	.globl	bluestein_single_back_len1008_dim1_dp_op_CI_CI
	.p2align	8
	.type	bluestein_single_back_len1008_dim1_dp_op_CI_CI,@function
bluestein_single_back_len1008_dim1_dp_op_CI_CI: ; @bluestein_single_back_len1008_dim1_dp_op_CI_CI
; %bb.0:
	s_load_b128 s[16:19], s[0:1], 0x28
	v_mul_u32_u24_e32 v1, 0x493, v0
	s_mov_b32 s2, exec_lo
	v_mov_b32_e32 v7, 0
	s_delay_alu instid0(VALU_DEP_2) | instskip(NEXT) | instid1(VALU_DEP_1)
	v_lshrrev_b32_e32 v1, 16, v1
	v_add_nc_u32_e32 v6, s15, v1
	s_waitcnt lgkmcnt(0)
	s_delay_alu instid0(VALU_DEP_1)
	v_cmpx_gt_u64_e64 s[16:17], v[6:7]
	s_cbranch_execz .LBB0_10
; %bb.1:
	s_clause 0x1
	s_load_b128 s[4:7], s[0:1], 0x18
	s_load_b128 s[8:11], s[0:1], 0x0
	v_mul_lo_u16 v1, v1, 56
	v_mov_b32_e32 v4, v6
                                        ; implicit-def: $vgpr248_vgpr249
                                        ; implicit-def: $vgpr156_vgpr157
                                        ; implicit-def: $vgpr160_vgpr161
	s_delay_alu instid0(VALU_DEP_2)
	v_sub_nc_u16 v42, v0, v1
	scratch_store_b64 off, v[4:5], off offset:4 ; 8-byte Folded Spill
	v_and_b32_e32 v140, 0xffff, v42
	s_waitcnt lgkmcnt(0)
	s_load_b128 s[12:15], s[4:5], 0x0
	s_waitcnt lgkmcnt(0)
	v_mad_u64_u32 v[0:1], null, s14, v6, 0
	v_mad_u64_u32 v[2:3], null, s12, v140, 0
	s_mul_hi_u32 s4, s12, 0x1f80
	s_mul_i32 s3, s12, 0x1f80
	s_mul_i32 s14, s13, 0xffffe400
	;; [unrolled: 1-line block ×3, first 2 shown]
	s_delay_alu instid0(VALU_DEP_1) | instskip(NEXT) | instid1(VALU_DEP_1)
	v_mad_u64_u32 v[4:5], null, s15, v6, v[1:2]
	v_mov_b32_e32 v1, v4
	s_delay_alu instid0(VALU_DEP_3) | instskip(SKIP_2) | instid1(VALU_DEP_4)
	v_mad_u64_u32 v[5:6], null, s13, v140, v[3:4]
	v_or_b32_e32 v15, 0x380, v140
	v_or_b32_e32 v69, 0x1c0, v140
	v_lshlrev_b64 v[0:1], 4, v[0:1]
	s_delay_alu instid0(VALU_DEP_4) | instskip(NEXT) | instid1(VALU_DEP_4)
	v_mov_b32_e32 v3, v5
	v_mad_u64_u32 v[4:5], null, s12, v15, 0
	s_delay_alu instid0(VALU_DEP_4) | instskip(NEXT) | instid1(VALU_DEP_3)
	v_mad_u64_u32 v[6:7], null, s12, v69, 0
	v_lshlrev_b64 v[2:3], 4, v[2:3]
	v_add_co_u32 v11, vcc_lo, s18, v0
	v_add_co_ci_u32_e32 v14, vcc_lo, s19, v1, vcc_lo
	s_delay_alu instid0(VALU_DEP_4) | instskip(NEXT) | instid1(VALU_DEP_3)
	v_mad_u64_u32 v[8:9], null, s13, v15, v[5:6]
	v_add_co_u32 v12, vcc_lo, v11, v2
	v_lshlrev_b32_e32 v70, 4, v140
	s_delay_alu instid0(VALU_DEP_4) | instskip(NEXT) | instid1(VALU_DEP_4)
	v_add_co_ci_u32_e32 v13, vcc_lo, v14, v3, vcc_lo
	v_mov_b32_e32 v5, v8
	global_load_b128 v[43:46], v70, s[8:9]
	global_load_b128 v[0:3], v[12:13], off
	v_mad_u64_u32 v[9:10], null, s13, v69, v[7:8]
	v_lshlrev_b32_e32 v10, 4, v69
	v_lshlrev_b64 v[4:5], 4, v[4:5]
	scratch_store_b32 off, v15, off offset:12 ; 4-byte Folded Spill
	v_lshlrev_b32_e32 v15, 4, v15
	v_add_co_u32 v59, s2, s8, v70
	v_mov_b32_e32 v7, v9
	v_add_co_u32 v4, vcc_lo, v11, v4
	v_add_co_ci_u32_e32 v5, vcc_lo, v14, v5, vcc_lo
	s_delay_alu instid0(VALU_DEP_3)
	v_lshlrev_b64 v[6:7], 4, v[6:7]
	scratch_store_b32 off, v15, off offset:312 ; 4-byte Folded Spill
	v_add_co_ci_u32_e64 v60, null, s9, 0, s2
	s_mul_i32 s2, s13, 0x1f80
	v_add_co_u32 v8, vcc_lo, v11, v6
	v_add_co_ci_u32_e32 v9, vcc_lo, v14, v7, vcc_lo
	global_load_b128 v[32:35], v15, s[8:9]
	global_load_b128 v[4:7], v[4:5], off
	scratch_store_b32 off, v10, off offset:308 ; 4-byte Folded Spill
	global_load_b128 v[36:39], v10, s[8:9]
	global_load_b128 v[8:11], v[8:9], off
	v_add_co_u32 v40, vcc_lo, 0x1000, v59
	v_add_co_ci_u32_e32 v41, vcc_lo, 0, v60, vcc_lo
	s_add_i32 s2, s4, s2
	v_add_co_u32 v16, vcc_lo, v12, s3
	v_add_co_ci_u32_e32 v17, vcc_lo, s2, v13, vcc_lo
	global_load_b128 v[47:50], v[40:41], off offset:3968
	global_load_b128 v[12:15], v[16:17], off
	s_mul_hi_u32 s4, s12, 0xffffe400
	v_add_co_u32 v20, vcc_lo, v16, s5
	s_sub_i32 s4, s4, s12
	s_delay_alu instid0(SALU_CYCLE_1) | instskip(NEXT) | instid1(SALU_CYCLE_1)
	s_add_i32 s4, s4, s14
	v_add_co_ci_u32_e32 v21, vcc_lo, s4, v17, vcc_lo
	global_load_b128 v[51:54], v70, s[8:9] offset:896
	global_load_b128 v[16:19], v[20:21], off
	global_load_b128 v[79:82], v[40:41], off offset:2176
	s_waitcnt vmcnt(10)
	scratch_store_b128 off, v[43:46], off offset:52 ; 16-byte Folded Spill
	s_waitcnt vmcnt(9)
	v_mul_f64 v[22:23], v[2:3], v[45:46]
	v_mul_f64 v[24:25], v[0:1], v[45:46]
	s_waitcnt vmcnt(8)
	scratch_store_b128 off, v[32:35], off offset:20 ; 16-byte Folded Spill
	s_waitcnt vmcnt(7)
	v_mul_f64 v[26:27], v[6:7], v[34:35]
	s_waitcnt vmcnt(6)
	scratch_store_b128 off, v[36:39], off offset:36 ; 16-byte Folded Spill
	s_waitcnt vmcnt(5)
	v_mul_f64 v[30:31], v[10:11], v[38:39]
	v_mul_f64 v[28:29], v[4:5], v[34:35]
	s_waitcnt vmcnt(4)
	scratch_store_b128 off, v[47:50], off offset:84 ; 16-byte Folded Spill
	v_fma_f64 v[0:1], v[0:1], v[43:44], v[22:23]
	v_mul_f64 v[22:23], v[8:9], v[38:39]
	v_fma_f64 v[2:3], v[2:3], v[43:44], -v[24:25]
	s_waitcnt vmcnt(3)
	v_mul_f64 v[24:25], v[14:15], v[49:50]
	s_waitcnt vmcnt(2)
	scratch_store_b128 off, v[51:54], off offset:100 ; 16-byte Folded Spill
	v_fma_f64 v[4:5], v[4:5], v[32:33], v[26:27]
	v_add_co_u32 v26, vcc_lo, v20, s3
	v_add_co_ci_u32_e32 v27, vcc_lo, s2, v21, vcc_lo
	v_fma_f64 v[8:9], v[8:9], v[36:37], v[30:31]
	v_fma_f64 v[6:7], v[6:7], v[32:33], -v[28:29]
	s_waitcnt vmcnt(1)
	v_mul_f64 v[28:29], v[16:17], v[53:54]
	v_fma_f64 v[10:11], v[10:11], v[36:37], -v[22:23]
	v_mul_f64 v[22:23], v[12:13], v[49:50]
	v_add_co_u32 v36, vcc_lo, 0x2000, v59
	v_add_co_ci_u32_e32 v37, vcc_lo, 0, v60, vcc_lo
	v_fma_f64 v[12:13], v[12:13], v[47:48], v[24:25]
	v_mul_f64 v[24:25], v[18:19], v[53:54]
	v_fma_f64 v[18:19], v[18:19], v[51:52], -v[28:29]
	v_fma_f64 v[14:15], v[14:15], v[47:48], -v[22:23]
	global_load_b128 v[20:23], v[26:27], off
	s_clause 0x1
	global_load_b128 v[30:33], v[36:37], off offset:768
	global_load_b128 v[43:46], v[36:37], off offset:1664
	v_fma_f64 v[16:17], v[16:17], v[51:52], v[24:25]
	s_waitcnt vmcnt(1)
	scratch_store_b128 off, v[30:33], off offset:292 ; 16-byte Folded Spill
	v_mul_f64 v[28:29], v[20:21], v[32:33]
	v_mul_f64 v[24:25], v[22:23], v[32:33]
	s_delay_alu instid0(VALU_DEP_2) | instskip(SKIP_2) | instid1(VALU_DEP_4)
	v_fma_f64 v[22:23], v[22:23], v[30:31], -v[28:29]
	v_add_co_u32 v28, vcc_lo, v26, s5
	v_add_co_ci_u32_e32 v29, vcc_lo, s4, v27, vcc_lo
	v_fma_f64 v[20:21], v[20:21], v[30:31], v[24:25]
	global_load_b128 v[24:27], v[28:29], off
	s_clause 0x1
	global_load_b128 v[51:54], v70, s[8:9] offset:1792
	global_load_b128 v[47:50], v70, s[8:9] offset:2688
	s_waitcnt vmcnt(3)
	scratch_store_b128 off, v[43:46], off offset:212 ; 16-byte Folded Spill
	s_waitcnt vmcnt(1)
	v_mul_f64 v[32:33], v[24:25], v[53:54]
	s_waitcnt vmcnt(0)
	scratch_store_b128 off, v[47:50], off offset:196 ; 16-byte Folded Spill
	v_mul_f64 v[30:31], v[26:27], v[53:54]
	scratch_store_b128 off, v[51:54], off offset:244 ; 16-byte Folded Spill
	v_fma_f64 v[26:27], v[26:27], v[51:52], -v[32:33]
	v_add_co_u32 v32, vcc_lo, v28, s3
	v_add_co_ci_u32_e32 v33, vcc_lo, s2, v29, vcc_lo
	v_fma_f64 v[24:25], v[24:25], v[51:52], v[30:31]
	global_load_b128 v[28:31], v[32:33], off
	s_waitcnt vmcnt(0)
	v_mul_f64 v[38:39], v[28:29], v[45:46]
	v_mul_f64 v[34:35], v[30:31], v[45:46]
	s_delay_alu instid0(VALU_DEP_2) | instskip(SKIP_2) | instid1(VALU_DEP_4)
	v_fma_f64 v[30:31], v[30:31], v[43:44], -v[38:39]
	v_add_co_u32 v38, vcc_lo, v32, s5
	v_add_co_ci_u32_e32 v39, vcc_lo, s4, v33, vcc_lo
	v_fma_f64 v[28:29], v[28:29], v[43:44], v[34:35]
	global_load_b128 v[32:35], v[38:39], off
	s_waitcnt vmcnt(0)
	v_mul_f64 v[43:44], v[34:35], v[49:50]
	v_mul_f64 v[45:46], v[32:33], v[49:50]
	s_delay_alu instid0(VALU_DEP_2)
	v_fma_f64 v[32:33], v[32:33], v[47:48], v[43:44]
	v_add_co_u32 v43, vcc_lo, v38, s3
	v_add_co_ci_u32_e32 v44, vcc_lo, s2, v39, vcc_lo
	s_clause 0x1
	global_load_b128 v[49:52], v[36:37], off offset:2560
	global_load_b128 v[61:64], v[36:37], off offset:3456
	global_load_b128 v[36:39], v[43:44], off
	v_fma_f64 v[34:35], v[34:35], v[47:48], -v[45:46]
	s_waitcnt vmcnt(2)
	scratch_store_b128 off, v[49:52], off offset:260 ; 16-byte Folded Spill
	s_waitcnt vmcnt(0)
	v_mul_f64 v[47:48], v[36:37], v[51:52]
	v_mul_f64 v[45:46], v[38:39], v[51:52]
	s_delay_alu instid0(VALU_DEP_2) | instskip(SKIP_2) | instid1(VALU_DEP_4)
	v_fma_f64 v[38:39], v[38:39], v[49:50], -v[47:48]
	v_add_co_u32 v47, vcc_lo, v43, s5
	v_add_co_ci_u32_e32 v48, vcc_lo, s4, v44, vcc_lo
	v_fma_f64 v[36:37], v[36:37], v[49:50], v[45:46]
	global_load_b128 v[53:56], v70, s[8:9] offset:3584
	global_load_b128 v[43:46], v[47:48], off
	scratch_store_b128 off, v[61:64], off offset:132 ; 16-byte Folded Spill
	s_waitcnt vmcnt(1)
	scratch_store_b128 off, v[53:56], off offset:276 ; 16-byte Folded Spill
	s_waitcnt vmcnt(0)
	v_mul_f64 v[51:52], v[43:44], v[55:56]
	v_mul_f64 v[49:50], v[45:46], v[55:56]
	s_delay_alu instid0(VALU_DEP_2) | instskip(SKIP_2) | instid1(VALU_DEP_4)
	v_fma_f64 v[45:46], v[45:46], v[53:54], -v[51:52]
	v_add_co_u32 v51, vcc_lo, v47, s3
	v_add_co_ci_u32_e32 v52, vcc_lo, s2, v48, vcc_lo
	v_fma_f64 v[43:44], v[43:44], v[53:54], v[49:50]
	global_load_b128 v[47:50], v[51:52], off
	s_waitcnt vmcnt(0)
	v_mul_f64 v[55:56], v[47:48], v[63:64]
	v_mul_f64 v[53:54], v[49:50], v[63:64]
	s_delay_alu instid0(VALU_DEP_2) | instskip(SKIP_2) | instid1(VALU_DEP_4)
	v_fma_f64 v[49:50], v[49:50], v[61:62], -v[55:56]
	v_add_co_u32 v55, vcc_lo, v51, s5
	v_add_co_ci_u32_e32 v56, vcc_lo, s4, v52, vcc_lo
	v_fma_f64 v[47:48], v[47:48], v[61:62], v[53:54]
	s_clause 0x1
	global_load_b128 v[61:64], v[40:41], off offset:384
	global_load_b128 v[71:74], v[40:41], off offset:1280
	global_load_b128 v[51:54], v[55:56], off
	s_waitcnt vmcnt(2)
	scratch_store_b128 off, v[61:64], off offset:148 ; 16-byte Folded Spill
	s_waitcnt vmcnt(0)
	v_mul_f64 v[40:41], v[53:54], v[63:64]
	v_mul_f64 v[57:58], v[51:52], v[63:64]
	s_delay_alu instid0(VALU_DEP_2)
	v_fma_f64 v[51:52], v[51:52], v[61:62], v[40:41]
	v_add_co_u32 v40, vcc_lo, v55, s3
	v_add_co_ci_u32_e32 v41, vcc_lo, s2, v56, vcc_lo
	v_add_co_u32 v67, vcc_lo, 0x3000, v59
	v_add_co_ci_u32_e32 v68, vcc_lo, 0, v60, vcc_lo
	v_fma_f64 v[53:54], v[53:54], v[61:62], -v[57:58]
	global_load_b128 v[55:58], v[40:41], off
	s_clause 0x1
	global_load_b128 v[63:66], v[67:68], off offset:256
	global_load_b128 v[75:78], v[67:68], off offset:1152
	v_add_co_u32 v40, vcc_lo, v40, s5
	v_add_co_ci_u32_e32 v41, vcc_lo, s4, v41, vcc_lo
	s_clause 0x1
	scratch_store_b128 off, v[71:74], off offset:116
	scratch_store_b128 off, v[79:82], off offset:68
	s_waitcnt vmcnt(1)
	v_mul_f64 v[59:60], v[57:58], v[65:66]
	v_mul_f64 v[61:62], v[55:56], v[65:66]
	scratch_store_b128 off, v[63:66], off offset:180 ; 16-byte Folded Spill
	s_waitcnt vmcnt(0)
	scratch_store_b128 off, v[75:78], off offset:164 ; 16-byte Folded Spill
	v_fma_f64 v[55:56], v[55:56], v[63:64], v[59:60]
	v_fma_f64 v[57:58], v[57:58], v[63:64], -v[61:62]
	global_load_b128 v[59:62], v[40:41], off
	v_add_co_u32 v40, vcc_lo, v40, s3
	v_add_co_ci_u32_e32 v41, vcc_lo, s2, v41, vcc_lo
	s_mov_b32 s2, 0xe8584caa
	s_mov_b32 s3, 0x3febb67a
	s_waitcnt vmcnt(0)
	v_mul_f64 v[63:64], v[61:62], v[73:74]
	v_mul_f64 v[65:66], v[59:60], v[73:74]
	s_delay_alu instid0(VALU_DEP_2) | instskip(NEXT) | instid1(VALU_DEP_2)
	v_fma_f64 v[59:60], v[59:60], v[71:72], v[63:64]
	v_fma_f64 v[61:62], v[61:62], v[71:72], -v[65:66]
	global_load_b128 v[63:66], v[40:41], off
	v_add_co_u32 v40, vcc_lo, v40, s5
	v_add_co_ci_u32_e32 v41, vcc_lo, s4, v41, vcc_lo
	v_cmp_gt_u16_e32 vcc_lo, 48, v42
	s_waitcnt vmcnt(0)
	v_mul_f64 v[71:72], v[65:66], v[77:78]
	v_mul_f64 v[73:74], v[63:64], v[77:78]
	s_delay_alu instid0(VALU_DEP_2) | instskip(NEXT) | instid1(VALU_DEP_2)
	v_fma_f64 v[63:64], v[63:64], v[75:76], v[71:72]
	v_fma_f64 v[65:66], v[65:66], v[75:76], -v[73:74]
	global_load_b128 v[71:74], v[40:41], off
	s_waitcnt vmcnt(0)
	v_mul_f64 v[75:76], v[73:74], v[81:82]
	v_mul_f64 v[77:78], v[71:72], v[81:82]
	s_delay_alu instid0(VALU_DEP_2) | instskip(SKIP_1) | instid1(VALU_DEP_3)
	v_fma_f64 v[71:72], v[71:72], v[79:80], v[75:76]
	v_mad_u64_u32 v[75:76], null, 0x2300, s12, v[40:41]
	v_fma_f64 v[73:74], v[73:74], v[79:80], -v[77:78]
	s_mov_b32 s12, s2
	s_delay_alu instid0(VALU_DEP_2) | instskip(NEXT) | instid1(VALU_DEP_1)
	v_mov_b32_e32 v40, v76
	v_mad_u64_u32 v[76:77], null, 0x2300, s13, v[40:41]
	global_load_b128 v[79:82], v[67:68], off offset:2944
	global_load_b128 v[75:78], v[75:76], off
	s_mov_b32 s13, 0xbfebb67a
	s_waitcnt vmcnt(1)
	scratch_store_b128 off, v[79:82], off offset:228 ; 16-byte Folded Spill
	s_waitcnt vmcnt(0)
	v_mul_f64 v[40:41], v[77:78], v[81:82]
	v_mul_f64 v[67:68], v[75:76], v[81:82]
	s_delay_alu instid0(VALU_DEP_2) | instskip(NEXT) | instid1(VALU_DEP_2)
	v_fma_f64 v[75:76], v[75:76], v[79:80], v[40:41]
	v_fma_f64 v[77:78], v[77:78], v[79:80], -v[67:68]
	ds_store_b128 v70, v[8:11] offset:7168
	ds_store_b128 v70, v[12:15] offset:8064
	ds_store_b128 v70, v[0:3]
	ds_store_b128 v70, v[16:19] offset:896
	ds_store_b128 v70, v[20:23] offset:8960
	;; [unrolled: 1-line block ×15, first 2 shown]
	s_load_b128 s[4:7], s[6:7], 0x0
	s_waitcnt lgkmcnt(0)
	s_waitcnt_vscnt null, 0x0
	s_barrier
	buffer_gl0_inv
	ds_load_b128 v[0:3], v70 offset:8064
	ds_load_b128 v[4:7], v70
	ds_load_b128 v[8:11], v70 offset:896
	ds_load_b128 v[12:15], v70 offset:7168
	;; [unrolled: 1-line block ×16, first 2 shown]
	v_lshlrev_b32_e32 v40, 5, v140
	s_waitcnt lgkmcnt(0)
	s_barrier
	buffer_gl0_inv
	v_add_f64 v[0:1], v[4:5], -v[0:1]
	v_add_f64 v[2:3], v[6:7], -v[2:3]
	;; [unrolled: 1-line block ×16, first 2 shown]
	v_add_co_u32 v71, null, 0x70, v140
	v_fma_f64 v[4:5], v[4:5], 2.0, -v[0:1]
	v_fma_f64 v[6:7], v[6:7], 2.0, -v[2:3]
	;; [unrolled: 1-line block ×12, first 2 shown]
	v_add_co_u32 v46, null, v140, 56
	v_fma_f64 v[59:60], v[59:60], 2.0, -v[55:56]
	v_fma_f64 v[61:62], v[61:62], 2.0, -v[57:58]
	ds_store_b128 v40, v[0:3] offset:16
	v_lshlrev_b32_e32 v0, 5, v46
	v_fma_f64 v[63:64], v[63:64], 2.0, -v[79:80]
	v_fma_f64 v[65:66], v[65:66], 2.0, -v[81:82]
	v_add_co_u32 v45, null, 0xa8, v140
	scratch_store_b32 off, v0, off offset:344 ; 4-byte Folded Spill
	v_add_co_u32 v44, null, 0xe0, v140
	v_add_co_u32 v43, null, 0x118, v140
	v_lshlrev_b32_e32 v2, 1, v140
	s_delay_alu instid0(VALU_DEP_1)
	v_lshlrev_b32_e32 v3, 4, v2
	ds_store_b128 v40, v[4:7]
	ds_store_b128 v0, v[16:19] offset:16
	ds_store_b128 v0, v[8:11]
	v_lshlrev_b32_e32 v0, 5, v71
	v_add_f64 v[5:6], v[14:15], -v[77:78]
	ds_store_b128 v0, v[24:27]
	ds_store_b128 v0, v[20:23] offset:16
	scratch_store_b32 off, v0, off offset:340 ; 4-byte Folded Spill
	v_lshlrev_b32_e32 v0, 5, v45
	ds_store_b128 v0, v[28:31]
	ds_store_b128 v0, v[32:35] offset:16
	scratch_store_b32 off, v0, off offset:336 ; 4-byte Folded Spill
	v_lshlrev_b32_e32 v0, 5, v44
	;; [unrolled: 4-line block ×3, first 2 shown]
	ds_store_b128 v0, v[47:50]
	ds_store_b128 v0, v[51:54] offset:16
	scratch_store_b32 off, v0, off offset:328 ; 4-byte Folded Spill
	v_add_nc_u32_e32 v0, 0x2a0, v2
	s_delay_alu instid0(VALU_DEP_1)
	v_lshlrev_b32_e32 v1, 4, v0
	ds_store_b128 v3, v[59:62] offset:10752
	v_fma_f64 v[9:10], v[14:15], 2.0, -v[5:6]
	ds_store_b128 v1, v[55:58] offset:16
	scratch_store_b32 off, v1, off offset:324 ; 4-byte Folded Spill
	v_add_nc_u32_e32 v1, 0x310, v2
	s_delay_alu instid0(VALU_DEP_1)
	v_lshlrev_b32_e32 v11, 4, v1
	ds_store_b128 v3, v[63:66] offset:12544
	v_add_f64 v[3:4], v[12:13], -v[75:76]
	ds_store_b128 v11, v[79:82] offset:16
	scratch_store_b32 off, v11, off offset:320 ; 4-byte Folded Spill
	v_lshlrev_b32_e32 v11, 5, v69
	s_clause 0x1
	scratch_store_b32 off, v40, off offset:348
	scratch_store_b32 off, v11, off offset:316
	v_fma_f64 v[7:8], v[12:13], 2.0, -v[3:4]
	ds_store_b128 v11, v[3:6] offset:16
	ds_store_b128 v11, v[7:10]
	v_and_b32_e32 v9, 1, v140
	s_waitcnt lgkmcnt(0)
	s_waitcnt_vscnt null, 0x0
	s_barrier
	buffer_gl0_inv
	v_lshlrev_b32_e32 v3, 4, v9
	global_load_b128 v[72:75], v3, s[10:11]
	ds_load_b128 v[76:79], v70 offset:8064
	ds_load_b128 v[3:6], v70 offset:7168
	s_waitcnt vmcnt(0) lgkmcnt(1)
	v_mul_f64 v[10:11], v[76:77], v[74:75]
	v_mul_f64 v[7:8], v[78:79], v[74:75]
	s_delay_alu instid0(VALU_DEP_2)
	v_fma_f64 v[20:21], v[78:79], v[72:73], v[10:11]
	ds_load_b128 v[10:13], v70 offset:8960
	ds_load_b128 v[14:17], v70 offset:9856
	v_fma_f64 v[7:8], v[76:77], v[72:73], -v[7:8]
	s_waitcnt lgkmcnt(1)
	v_mul_f64 v[18:19], v[12:13], v[74:75]
	s_delay_alu instid0(VALU_DEP_1) | instskip(SKIP_1) | instid1(VALU_DEP_1)
	v_fma_f64 v[22:23], v[10:11], v[72:73], -v[18:19]
	v_mul_f64 v[10:11], v[10:11], v[74:75]
	v_fma_f64 v[24:25], v[12:13], v[72:73], v[10:11]
	s_waitcnt lgkmcnt(0)
	v_mul_f64 v[10:11], v[16:17], v[74:75]
	s_delay_alu instid0(VALU_DEP_1) | instskip(SKIP_1) | instid1(VALU_DEP_1)
	v_fma_f64 v[34:35], v[14:15], v[72:73], -v[10:11]
	v_mul_f64 v[10:11], v[14:15], v[74:75]
	v_fma_f64 v[36:37], v[16:17], v[72:73], v[10:11]
	ds_load_b128 v[10:13], v70 offset:10752
	ds_load_b128 v[14:17], v70 offset:11648
	s_waitcnt lgkmcnt(1)
	v_mul_f64 v[18:19], v[12:13], v[74:75]
	s_delay_alu instid0(VALU_DEP_1) | instskip(SKIP_1) | instid1(VALU_DEP_1)
	v_fma_f64 v[38:39], v[10:11], v[72:73], -v[18:19]
	v_mul_f64 v[10:11], v[10:11], v[74:75]
	v_fma_f64 v[40:41], v[12:13], v[72:73], v[10:11]
	s_waitcnt lgkmcnt(0)
	v_mul_f64 v[10:11], v[16:17], v[74:75]
	s_delay_alu instid0(VALU_DEP_1) | instskip(SKIP_1) | instid1(VALU_DEP_1)
	v_fma_f64 v[55:56], v[14:15], v[72:73], -v[10:11]
	v_mul_f64 v[10:11], v[14:15], v[74:75]
	v_fma_f64 v[57:58], v[16:17], v[72:73], v[10:11]
	ds_load_b128 v[10:13], v70 offset:12544
	ds_load_b128 v[14:17], v70 offset:13440
	;; [unrolled: 14-line block ×3, first 2 shown]
	s_waitcnt lgkmcnt(1)
	v_mul_f64 v[18:19], v[12:13], v[74:75]
	s_delay_alu instid0(VALU_DEP_1) | instskip(SKIP_1) | instid1(VALU_DEP_1)
	v_fma_f64 v[84:85], v[10:11], v[72:73], -v[18:19]
	v_mul_f64 v[10:11], v[10:11], v[74:75]
	v_fma_f64 v[86:87], v[12:13], v[72:73], v[10:11]
	s_waitcnt lgkmcnt(0)
	v_mul_f64 v[10:11], v[16:17], v[74:75]
	s_delay_alu instid0(VALU_DEP_1) | instskip(SKIP_1) | instid1(VALU_DEP_2)
	v_fma_f64 v[88:89], v[14:15], v[72:73], -v[10:11]
	v_mul_f64 v[10:11], v[14:15], v[74:75]
	v_add_f64 v[88:89], v[3:4], -v[88:89]
	s_delay_alu instid0(VALU_DEP_2)
	v_fma_f64 v[90:91], v[16:17], v[72:73], v[10:11]
	ds_load_b128 v[10:13], v70
	ds_load_b128 v[14:17], v70 offset:896
	ds_load_b128 v[26:29], v70 offset:1792
	ds_load_b128 v[30:33], v70 offset:2688
	ds_load_b128 v[47:50], v70 offset:3584
	ds_load_b128 v[51:54], v70 offset:4480
	ds_load_b128 v[63:66], v70 offset:5376
	ds_load_b128 v[76:79], v70 offset:6272
	s_waitcnt lgkmcnt(0)
	s_barrier
	buffer_gl0_inv
	v_add_f64 v[18:19], v[10:11], -v[7:8]
	v_add_f64 v[20:21], v[12:13], -v[20:21]
	;; [unrolled: 1-line block ×16, first 2 shown]
	v_fma_f64 v[92:93], v[3:4], 2.0, -v[88:89]
	v_add_f64 v[90:91], v[5:6], -v[90:91]
	v_and_or_b32 v3, 0x7c, v2, v9
	s_delay_alu instid0(VALU_DEP_1)
	v_lshlrev_b32_e32 v3, 4, v3
	scratch_store_b32 off, v3, off offset:376 ; 4-byte Folded Spill
	v_fma_f64 v[10:11], v[10:11], 2.0, -v[18:19]
	v_fma_f64 v[12:13], v[12:13], 2.0, -v[20:21]
	;; [unrolled: 1-line block ×6, first 2 shown]
	ds_store_b128 v3, v[18:21] offset:32
	v_fma_f64 v[30:31], v[30:31], 2.0, -v[38:39]
	v_fma_f64 v[32:33], v[32:33], 2.0, -v[40:41]
	;; [unrolled: 1-line block ×11, first 2 shown]
	ds_store_b128 v3, v[10:13]
	v_lshlrev_b32_e32 v3, 1, v46
	s_delay_alu instid0(VALU_DEP_1) | instskip(NEXT) | instid1(VALU_DEP_1)
	v_and_or_b32 v4, 0xfc, v3, v9
	v_lshlrev_b32_e32 v4, 4, v4
	ds_store_b128 v4, v[14:17]
	ds_store_b128 v4, v[22:25] offset:32
	scratch_store_b32 off, v4, off offset:384 ; 4-byte Folded Spill
	v_lshlrev_b32_e32 v4, 1, v71
	s_delay_alu instid0(VALU_DEP_1) | instskip(NEXT) | instid1(VALU_DEP_1)
	v_and_or_b32 v5, 0x1fc, v4, v9
	v_lshlrev_b32_e32 v5, 4, v5
	ds_store_b128 v5, v[26:29]
	ds_store_b128 v5, v[34:37] offset:32
	scratch_store_b32 off, v5, off offset:380 ; 4-byte Folded Spill
	;; [unrolled: 7-line block ×5, first 2 shown]
	v_and_or_b32 v8, 0x3fc, v0, v9
	s_delay_alu instid0(VALU_DEP_1) | instskip(SKIP_4) | instid1(VALU_DEP_1)
	v_lshlrev_b32_e32 v8, 4, v8
	ds_store_b128 v8, v[63:66]
	ds_store_b128 v8, v[80:83] offset:32
	scratch_store_b32 off, v8, off offset:360 ; 4-byte Folded Spill
	v_and_or_b32 v8, 0x3fc, v1, v9
	v_lshlrev_b32_e32 v8, 4, v8
	ds_store_b128 v8, v[76:79]
	ds_store_b128 v8, v[84:87] offset:32
	scratch_store_b32 off, v8, off offset:356 ; 4-byte Folded Spill
	v_lshlrev_b32_e32 v8, 1, v69
	s_delay_alu instid0(VALU_DEP_1) | instskip(NEXT) | instid1(VALU_DEP_1)
	v_and_or_b32 v9, 0x3fc, v8, v9
	v_lshlrev_b32_e32 v9, 4, v9
	s_clause 0x1
	scratch_store_b32 off, v69, off offset:16
	scratch_store_b32 off, v9, off offset:352
	ds_store_b128 v9, v[92:95]
	ds_store_b128 v9, v[88:91] offset:32
	v_and_b32_e32 v9, 3, v140
	s_waitcnt lgkmcnt(0)
	s_waitcnt_vscnt null, 0x0
	s_barrier
	buffer_gl0_inv
	v_lshlrev_b32_e32 v10, 4, v9
	global_load_b128 v[76:79], v10, s[10:11] offset:32
	ds_load_b128 v[80:83], v70 offset:8064
	ds_load_b128 v[10:13], v70 offset:7168
	s_waitcnt vmcnt(0) lgkmcnt(1)
	v_mul_f64 v[14:15], v[82:83], v[78:79]
	s_delay_alu instid0(VALU_DEP_1) | instskip(SKIP_1) | instid1(VALU_DEP_1)
	v_fma_f64 v[22:23], v[80:81], v[76:77], -v[14:15]
	v_mul_f64 v[14:15], v[80:81], v[78:79]
	v_fma_f64 v[24:25], v[82:83], v[76:77], v[14:15]
	ds_load_b128 v[14:17], v70 offset:8960
	ds_load_b128 v[18:21], v70 offset:9856
	s_waitcnt lgkmcnt(1)
	v_mul_f64 v[26:27], v[16:17], v[78:79]
	s_delay_alu instid0(VALU_DEP_1) | instskip(SKIP_1) | instid1(VALU_DEP_1)
	v_fma_f64 v[26:27], v[14:15], v[76:77], -v[26:27]
	v_mul_f64 v[14:15], v[14:15], v[78:79]
	v_fma_f64 v[28:29], v[16:17], v[76:77], v[14:15]
	s_waitcnt lgkmcnt(0)
	v_mul_f64 v[14:15], v[20:21], v[78:79]
	s_delay_alu instid0(VALU_DEP_1) | instskip(SKIP_1) | instid1(VALU_DEP_1)
	v_fma_f64 v[38:39], v[18:19], v[76:77], -v[14:15]
	v_mul_f64 v[14:15], v[18:19], v[78:79]
	v_fma_f64 v[40:41], v[20:21], v[76:77], v[14:15]
	ds_load_b128 v[14:17], v70 offset:10752
	ds_load_b128 v[18:21], v70 offset:11648
	s_waitcnt lgkmcnt(1)
	v_mul_f64 v[30:31], v[16:17], v[78:79]
	s_delay_alu instid0(VALU_DEP_1) | instskip(SKIP_1) | instid1(VALU_DEP_1)
	v_fma_f64 v[47:48], v[14:15], v[76:77], -v[30:31]
	v_mul_f64 v[14:15], v[14:15], v[78:79]
	v_fma_f64 v[49:50], v[16:17], v[76:77], v[14:15]
	s_waitcnt lgkmcnt(0)
	;; [unrolled: 14-line block ×4, first 2 shown]
	v_mul_f64 v[14:15], v[20:21], v[78:79]
	s_delay_alu instid0(VALU_DEP_1) | instskip(SKIP_1) | instid1(VALU_DEP_2)
	v_fma_f64 v[96:97], v[18:19], v[76:77], -v[14:15]
	v_mul_f64 v[14:15], v[18:19], v[78:79]
	v_add_f64 v[96:97], v[10:11], -v[96:97]
	s_delay_alu instid0(VALU_DEP_2)
	v_fma_f64 v[98:99], v[20:21], v[76:77], v[14:15]
	ds_load_b128 v[14:17], v70
	ds_load_b128 v[18:21], v70 offset:896
	ds_load_b128 v[30:33], v70 offset:1792
	;; [unrolled: 1-line block ×7, first 2 shown]
	s_waitcnt lgkmcnt(0)
	s_barrier
	buffer_gl0_inv
	v_add_f64 v[22:23], v[14:15], -v[22:23]
	v_add_f64 v[24:25], v[16:17], -v[24:25]
	;; [unrolled: 1-line block ×14, first 2 shown]
	v_and_or_b32 v67, 0x78, v2, v9
	v_add_f64 v[92:93], v[84:85], -v[92:93]
	v_add_f64 v[94:95], v[86:87], -v[94:95]
	v_fma_f64 v[10:11], v[10:11], 2.0, -v[96:97]
	v_add_f64 v[98:99], v[12:13], -v[98:99]
	v_lshlrev_b32_e32 v67, 4, v67
	v_fma_f64 v[14:15], v[14:15], 2.0, -v[22:23]
	v_fma_f64 v[16:17], v[16:17], 2.0, -v[24:25]
	;; [unrolled: 1-line block ×8, first 2 shown]
	ds_store_b128 v67, v[22:25] offset:64
	v_fma_f64 v[51:52], v[51:52], 2.0, -v[59:60]
	v_fma_f64 v[53:54], v[53:54], 2.0, -v[61:62]
	;; [unrolled: 1-line block ×9, first 2 shown]
	ds_store_b128 v67, v[14:17]
	v_and_or_b32 v14, 0xf8, v3, v9
	s_delay_alu instid0(VALU_DEP_1) | instskip(SKIP_4) | instid1(VALU_DEP_1)
	v_lshlrev_b32_e32 v14, 4, v14
	ds_store_b128 v14, v[18:21]
	ds_store_b128 v14, v[26:29] offset:64
	scratch_store_b32 off, v14, off offset:476 ; 4-byte Folded Spill
	v_and_or_b32 v14, 0x1f8, v4, v9
	v_lshlrev_b32_e32 v14, 4, v14
	ds_store_b128 v14, v[30:33]
	ds_store_b128 v14, v[38:41] offset:64
	scratch_store_b32 off, v14, off offset:472 ; 4-byte Folded Spill
	v_and_or_b32 v14, 0x1f8, v5, v9
	s_delay_alu instid0(VALU_DEP_1) | instskip(SKIP_4) | instid1(VALU_DEP_1)
	v_lshlrev_b32_e32 v14, 4, v14
	ds_store_b128 v14, v[34:37]
	ds_store_b128 v14, v[47:50] offset:64
	scratch_store_b32 off, v14, off offset:464 ; 4-byte Folded Spill
	v_and_or_b32 v14, 0x3f8, v6, v9
	v_lshlrev_b32_e32 v14, 4, v14
	ds_store_b128 v14, v[51:54]
	ds_store_b128 v14, v[59:62] offset:64
	scratch_store_b32 off, v14, off offset:460 ; 4-byte Folded Spill
	v_and_or_b32 v14, 0x2f8, v7, v9
	s_delay_alu instid0(VALU_DEP_1) | instskip(SKIP_4) | instid1(VALU_DEP_1)
	v_lshlrev_b32_e32 v14, 4, v14
	ds_store_b128 v14, v[55:58]
	ds_store_b128 v14, v[63:66] offset:64
	scratch_store_b32 off, v14, off offset:456 ; 4-byte Folded Spill
	v_and_or_b32 v14, 0x3f8, v0, v9
	v_lshlrev_b32_e32 v14, 4, v14
	ds_store_b128 v14, v[80:83]
	ds_store_b128 v14, v[88:91] offset:64
	scratch_store_b32 off, v14, off offset:452 ; 4-byte Folded Spill
	v_and_or_b32 v14, 0x3f8, v1, v9
	v_and_or_b32 v9, 0x3f8, v8, v9
	s_delay_alu instid0(VALU_DEP_2) | instskip(NEXT) | instid1(VALU_DEP_2)
	v_lshlrev_b32_e32 v14, 4, v14
	v_lshlrev_b32_e32 v9, 4, v9
	s_clause 0x2
	scratch_store_b32 off, v67, off offset:468
	scratch_store_b32 off, v14, off offset:448
	;; [unrolled: 1-line block ×3, first 2 shown]
	ds_store_b128 v14, v[84:87]
	ds_store_b128 v14, v[92:95] offset:64
	ds_store_b128 v9, v[10:13]
	ds_store_b128 v9, v[96:99] offset:64
	v_and_b32_e32 v9, 7, v140
	s_waitcnt lgkmcnt(0)
	s_waitcnt_vscnt null, 0x0
	s_barrier
	buffer_gl0_inv
	v_lshlrev_b32_e32 v10, 4, v9
	v_and_or_b32 v2, 0x70, v2, v9
	v_and_or_b32 v0, 0x3f0, v0, v9
	global_load_b128 v[80:83], v10, s[10:11] offset:96
	ds_load_b128 v[84:87], v70 offset:8064
	ds_load_b128 v[10:13], v70 offset:7168
	v_lshlrev_b32_e32 v2, 4, v2
	v_lshlrev_b32_e32 v0, 4, v0
	s_waitcnt vmcnt(0) lgkmcnt(1)
	v_mul_f64 v[14:15], v[86:87], v[82:83]
	s_delay_alu instid0(VALU_DEP_1) | instskip(SKIP_1) | instid1(VALU_DEP_1)
	v_fma_f64 v[22:23], v[84:85], v[80:81], -v[14:15]
	v_mul_f64 v[14:15], v[84:85], v[82:83]
	v_fma_f64 v[24:25], v[86:87], v[80:81], v[14:15]
	ds_load_b128 v[14:17], v70 offset:8960
	ds_load_b128 v[18:21], v70 offset:9856
	s_waitcnt lgkmcnt(1)
	v_mul_f64 v[26:27], v[16:17], v[82:83]
	s_delay_alu instid0(VALU_DEP_1) | instskip(SKIP_1) | instid1(VALU_DEP_1)
	v_fma_f64 v[26:27], v[14:15], v[80:81], -v[26:27]
	v_mul_f64 v[14:15], v[14:15], v[82:83]
	v_fma_f64 v[28:29], v[16:17], v[80:81], v[14:15]
	s_waitcnt lgkmcnt(0)
	v_mul_f64 v[14:15], v[20:21], v[82:83]
	s_delay_alu instid0(VALU_DEP_1) | instskip(SKIP_1) | instid1(VALU_DEP_1)
	v_fma_f64 v[38:39], v[18:19], v[80:81], -v[14:15]
	v_mul_f64 v[14:15], v[18:19], v[82:83]
	v_fma_f64 v[40:41], v[20:21], v[80:81], v[14:15]
	ds_load_b128 v[14:17], v70 offset:10752
	ds_load_b128 v[18:21], v70 offset:11648
	s_waitcnt lgkmcnt(1)
	v_mul_f64 v[30:31], v[16:17], v[82:83]
	s_delay_alu instid0(VALU_DEP_1) | instskip(SKIP_1) | instid1(VALU_DEP_1)
	v_fma_f64 v[47:48], v[14:15], v[80:81], -v[30:31]
	v_mul_f64 v[14:15], v[14:15], v[82:83]
	v_fma_f64 v[49:50], v[16:17], v[80:81], v[14:15]
	s_waitcnt lgkmcnt(0)
	;; [unrolled: 14-line block ×4, first 2 shown]
	v_mul_f64 v[14:15], v[20:21], v[82:83]
	s_delay_alu instid0(VALU_DEP_1) | instskip(SKIP_1) | instid1(VALU_DEP_2)
	v_fma_f64 v[100:101], v[18:19], v[80:81], -v[14:15]
	v_mul_f64 v[14:15], v[18:19], v[82:83]
	v_add_f64 v[100:101], v[10:11], -v[100:101]
	s_delay_alu instid0(VALU_DEP_2)
	v_fma_f64 v[102:103], v[20:21], v[80:81], v[14:15]
	ds_load_b128 v[14:17], v70
	ds_load_b128 v[18:21], v70 offset:896
	ds_load_b128 v[30:33], v70 offset:1792
	;; [unrolled: 1-line block ×7, first 2 shown]
	s_waitcnt lgkmcnt(0)
	s_barrier
	buffer_gl0_inv
	s_clause 0x1
	scratch_store_b32 off, v2, off offset:512
	scratch_store_b32 off, v0, off offset:496
	v_add_f64 v[22:23], v[14:15], -v[22:23]
	v_add_f64 v[24:25], v[16:17], -v[24:25]
	;; [unrolled: 1-line block ×16, first 2 shown]
	v_fma_f64 v[10:11], v[10:11], 2.0, -v[100:101]
	v_add_f64 v[102:103], v[12:13], -v[102:103]
	v_fma_f64 v[14:15], v[14:15], 2.0, -v[22:23]
	v_fma_f64 v[16:17], v[16:17], 2.0, -v[24:25]
	;; [unrolled: 1-line block ×8, first 2 shown]
	ds_store_b128 v2, v[22:25] offset:128
	v_fma_f64 v[51:52], v[51:52], 2.0, -v[59:60]
	v_fma_f64 v[53:54], v[53:54], 2.0, -v[61:62]
	;; [unrolled: 1-line block ×9, first 2 shown]
	ds_store_b128 v2, v[14:17]
	v_and_or_b32 v2, 0xf0, v3, v9
	s_delay_alu instid0(VALU_DEP_1) | instskip(SKIP_4) | instid1(VALU_DEP_1)
	v_lshlrev_b32_e32 v2, 4, v2
	ds_store_b128 v2, v[18:21]
	ds_store_b128 v2, v[26:29] offset:128
	scratch_store_b32 off, v2, off offset:520 ; 4-byte Folded Spill
	v_and_or_b32 v2, 0x1f0, v4, v9
	v_lshlrev_b32_e32 v2, 4, v2
	ds_store_b128 v2, v[30:33]
	ds_store_b128 v2, v[38:41] offset:128
	scratch_store_b32 off, v2, off offset:516 ; 4-byte Folded Spill
	v_and_or_b32 v2, 0x1f0, v5, v9
	s_delay_alu instid0(VALU_DEP_1)
	v_lshlrev_b32_e32 v2, 4, v2
	ds_store_b128 v2, v[34:37]
	ds_store_b128 v2, v[47:50] offset:128
	scratch_store_b32 off, v2, off offset:508 ; 4-byte Folded Spill
	v_and_or_b32 v2, 0x3f0, v6, v9
	v_and_b32_e32 v47, 15, v140
	v_and_b32_e32 v49, 15, v46
	;; [unrolled: 1-line block ×4, first 2 shown]
	v_lshlrev_b32_e32 v2, 4, v2
	s_delay_alu instid0(VALU_DEP_3) | instskip(SKIP_4) | instid1(VALU_DEP_1)
	v_lshlrev_b32_e32 v38, 5, v48
	ds_store_b128 v2, v[51:54]
	ds_store_b128 v2, v[59:62] offset:128
	scratch_store_b32 off, v2, off offset:504 ; 4-byte Folded Spill
	v_and_or_b32 v2, 0x2f0, v7, v9
	v_lshlrev_b32_e32 v2, 4, v2
	ds_store_b128 v2, v[55:58]
	ds_store_b128 v2, v[63:66] offset:128
	ds_store_b128 v0, v[84:87]
	ds_store_b128 v0, v[92:95] offset:128
	v_and_or_b32 v0, 0x3f0, v1, v9
	s_delay_alu instid0(VALU_DEP_1) | instskip(SKIP_4) | instid1(VALU_DEP_1)
	v_lshlrev_b32_e32 v0, 4, v0
	ds_store_b128 v0, v[88:91]
	ds_store_b128 v0, v[96:99] offset:128
	scratch_store_b32 off, v0, off offset:492 ; 4-byte Folded Spill
	v_and_or_b32 v0, 0x3f0, v8, v9
	v_lshlrev_b32_e32 v0, 4, v0
	s_clause 0x1
	scratch_store_b32 off, v2, off offset:500
	scratch_store_b32 off, v0, off offset:480
	ds_store_b128 v0, v[10:13]
	ds_store_b128 v0, v[100:103] offset:128
	v_lshlrev_b32_e32 v0, 5, v47
	s_waitcnt lgkmcnt(0)
	s_waitcnt_vscnt null, 0x0
	s_barrier
	buffer_gl0_inv
	s_clause 0x1
	global_load_b128 v[84:87], v0, s[10:11] offset:224
	global_load_b128 v[88:91], v0, s[10:11] offset:240
	ds_load_b128 v[0:3], v70 offset:5376
	ds_load_b128 v[12:15], v70 offset:6272
	s_waitcnt vmcnt(1) lgkmcnt(1)
	v_mul_f64 v[4:5], v[2:3], v[86:87]
	s_delay_alu instid0(VALU_DEP_1) | instskip(SKIP_1) | instid1(VALU_DEP_1)
	v_fma_f64 v[4:5], v[0:1], v[84:85], -v[4:5]
	v_mul_f64 v[0:1], v[0:1], v[86:87]
	v_fma_f64 v[10:11], v[2:3], v[84:85], v[0:1]
	ds_load_b128 v[0:3], v70 offset:10752
	ds_load_b128 v[24:27], v70 offset:11648
	s_waitcnt vmcnt(0) lgkmcnt(1)
	v_mul_f64 v[6:7], v[2:3], v[90:91]
	s_delay_alu instid0(VALU_DEP_1) | instskip(SKIP_1) | instid1(VALU_DEP_1)
	v_fma_f64 v[16:17], v[0:1], v[88:89], -v[6:7]
	v_mul_f64 v[0:1], v[0:1], v[90:91]
	v_fma_f64 v[22:23], v[2:3], v[88:89], v[0:1]
	v_lshlrev_b32_e32 v0, 5, v49
	s_clause 0x1
	global_load_b64 v[2:3], v0, s[10:11] offset:224
	global_load_b128 v[59:62], v38, s[10:11] offset:224
	s_waitcnt vmcnt(1)
	scratch_store_b64 off, v[2:3], off offset:388 ; 8-byte Folded Spill
	s_clause 0x1
	global_load_b128 v[92:95], v38, s[10:11] offset:240
	global_load_b128 v[63:66], v38, s[10:11] offset:232
	s_waitcnt vmcnt(2)
	v_mul_f64 v[0:1], v[14:15], v[61:62]
	s_delay_alu instid0(VALU_DEP_1) | instskip(SKIP_1) | instid1(VALU_DEP_1)
	v_fma_f64 v[6:7], v[12:13], v[2:3], -v[0:1]
	v_mul_f64 v[0:1], v[12:13], v[61:62]
	v_fma_f64 v[12:13], v[14:15], v[2:3], v[0:1]
	s_waitcnt vmcnt(1) lgkmcnt(0)
	v_mul_f64 v[0:1], v[26:27], v[94:95]
	s_waitcnt vmcnt(0)
	s_delay_alu instid0(VALU_DEP_1) | instskip(SKIP_1) | instid1(VALU_DEP_1)
	v_fma_f64 v[18:19], v[24:25], v[65:66], -v[0:1]
	v_mul_f64 v[0:1], v[24:25], v[94:95]
	v_fma_f64 v[24:25], v[26:27], v[65:66], v[0:1]
	ds_load_b128 v[26:29], v70 offset:7168
	ds_load_b128 v[30:33], v70 offset:8064
	s_waitcnt lgkmcnt(1)
	v_mul_f64 v[0:1], v[28:29], v[86:87]
	s_delay_alu instid0(VALU_DEP_1) | instskip(SKIP_1) | instid1(VALU_DEP_1)
	v_fma_f64 v[2:3], v[26:27], v[84:85], -v[0:1]
	v_mul_f64 v[0:1], v[26:27], v[86:87]
	v_fma_f64 v[8:9], v[28:29], v[84:85], v[0:1]
	ds_load_b128 v[26:29], v70 offset:12544
	ds_load_b128 v[34:37], v70 offset:13440
	s_waitcnt lgkmcnt(1)
	v_mul_f64 v[0:1], v[28:29], v[90:91]
	s_delay_alu instid0(VALU_DEP_1) | instskip(SKIP_1) | instid1(VALU_DEP_2)
	v_fma_f64 v[14:15], v[26:27], v[88:89], -v[0:1]
	v_mul_f64 v[0:1], v[26:27], v[90:91]
	v_add_f64 v[104:105], v[2:3], v[14:15]
	s_delay_alu instid0(VALU_DEP_2)
	v_fma_f64 v[20:21], v[28:29], v[88:89], v[0:1]
	v_lshlrev_b32_e32 v0, 5, v50
	s_clause 0x2
	global_load_b64 v[96:97], v38, s[10:11] offset:248
	global_load_b128 v[116:119], v0, s[10:11] offset:224
	global_load_b128 v[108:111], v0, s[10:11] offset:240
	v_lshrrev_b32_e32 v0, 4, v140
	s_delay_alu instid0(VALU_DEP_1) | instskip(NEXT) | instid1(VALU_DEP_1)
	v_mul_u32_u24_e32 v0, 48, v0
	v_or_b32_e32 v0, v0, v47
	s_delay_alu instid0(VALU_DEP_1) | instskip(SKIP_2) | instid1(VALU_DEP_1)
	v_lshlrev_b32_e32 v0, 4, v0
	s_waitcnt vmcnt(1)
	v_mul_f64 v[26:27], v[32:33], v[118:119]
	v_fma_f64 v[67:68], v[30:31], v[116:117], -v[26:27]
	v_mul_f64 v[26:27], v[30:31], v[118:119]
	s_delay_alu instid0(VALU_DEP_1)
	v_fma_f64 v[120:121], v[32:33], v[116:117], v[26:27]
	s_waitcnt vmcnt(0) lgkmcnt(0)
	v_mul_f64 v[26:27], v[36:37], v[110:111]
	ds_load_b128 v[30:33], v70 offset:8960
	ds_load_b128 v[51:54], v70 offset:9856
	v_fma_f64 v[122:123], v[34:35], v[108:109], -v[26:27]
	v_mul_f64 v[26:27], v[34:35], v[110:111]
	s_delay_alu instid0(VALU_DEP_1) | instskip(SKIP_2) | instid1(VALU_DEP_2)
	v_fma_f64 v[124:125], v[36:37], v[108:109], v[26:27]
	s_waitcnt lgkmcnt(1)
	v_mul_f64 v[26:27], v[32:33], v[86:87]
	v_add_f64 v[126:127], v[120:121], -v[124:125]
	s_delay_alu instid0(VALU_DEP_2) | instskip(SKIP_1) | instid1(VALU_DEP_1)
	v_fma_f64 v[28:29], v[30:31], v[84:85], -v[26:27]
	v_mul_f64 v[26:27], v[30:31], v[86:87]
	v_fma_f64 v[34:35], v[32:33], v[84:85], v[26:27]
	ds_load_b128 v[30:33], v70 offset:14336
	ds_load_b128 v[55:58], v70 offset:15232
	s_clause 0x3
	scratch_store_b128 off, v[63:66], off offset:412
	scratch_store_b128 off, v[59:62], off offset:396
	scratch_store_b64 off, v[96:97], off offset:484
	scratch_store_b128 off, v[92:95], off offset:428
	s_waitcnt lgkmcnt(1)
	v_mul_f64 v[26:27], v[32:33], v[90:91]
	s_waitcnt lgkmcnt(0)
	v_mul_f64 v[36:37], v[55:56], v[96:97]
	s_delay_alu instid0(VALU_DEP_2) | instskip(SKIP_2) | instid1(VALU_DEP_4)
	v_fma_f64 v[38:39], v[30:31], v[88:89], -v[26:27]
	v_mul_f64 v[26:27], v[30:31], v[90:91]
	v_mul_f64 v[30:31], v[51:52], v[63:64]
	v_fma_f64 v[36:37], v[57:58], v[92:93], v[36:37]
	s_delay_alu instid0(VALU_DEP_3) | instskip(SKIP_3) | instid1(VALU_DEP_3)
	v_fma_f64 v[40:41], v[32:33], v[88:89], v[26:27]
	v_mul_f64 v[26:27], v[53:54], v[63:64]
	v_mul_f64 v[32:33], v[57:58], v[96:97]
	v_fma_f64 v[30:31], v[53:54], v[59:60], v[30:31]
	v_fma_f64 v[26:27], v[51:52], v[59:60], -v[26:27]
	v_add_f64 v[59:60], v[4:5], v[16:17]
	s_delay_alu instid0(VALU_DEP_4)
	v_fma_f64 v[32:33], v[55:56], v[92:93], -v[32:33]
	ds_load_b128 v[51:54], v70
	ds_load_b128 v[55:58], v70 offset:896
	s_waitcnt lgkmcnt(1)
	v_fma_f64 v[61:62], v[59:60], -0.5, v[51:52]
	v_add_f64 v[59:60], v[10:11], v[22:23]
	v_add_f64 v[51:52], v[51:52], v[4:5]
	v_add_f64 v[4:5], v[4:5], -v[16:17]
	s_delay_alu instid0(VALU_DEP_3) | instskip(SKIP_3) | instid1(VALU_DEP_3)
	v_fma_f64 v[65:66], v[59:60], -0.5, v[53:54]
	v_add_f64 v[53:54], v[53:54], v[10:11]
	v_add_f64 v[10:11], v[10:11], -v[22:23]
	v_add_f64 v[51:52], v[51:52], v[16:17]
	v_add_f64 v[53:54], v[53:54], v[22:23]
	s_delay_alu instid0(VALU_DEP_3)
	v_fma_f64 v[59:60], v[10:11], s[2:3], v[61:62]
	v_fma_f64 v[63:64], v[10:11], s[12:13], v[61:62]
	;; [unrolled: 1-line block ×4, first 2 shown]
	v_add_f64 v[4:5], v[6:7], v[18:19]
	s_waitcnt lgkmcnt(0)
	v_add_f64 v[10:11], v[55:56], v[6:7]
	s_delay_alu instid0(VALU_DEP_2) | instskip(SKIP_2) | instid1(VALU_DEP_4)
	v_fma_f64 v[16:17], v[4:5], -0.5, v[55:56]
	v_add_f64 v[4:5], v[12:13], v[24:25]
	v_add_f64 v[55:56], v[12:13], -v[24:25]
	v_add_f64 v[10:11], v[10:11], v[18:19]
	v_add_f64 v[18:19], v[6:7], -v[18:19]
	s_delay_alu instid0(VALU_DEP_4) | instskip(SKIP_1) | instid1(VALU_DEP_2)
	v_fma_f64 v[22:23], v[4:5], -0.5, v[57:58]
	v_add_f64 v[4:5], v[57:58], v[12:13]
	v_fma_f64 v[6:7], v[18:19], s[12:13], v[22:23]
	s_delay_alu instid0(VALU_DEP_2)
	v_add_f64 v[12:13], v[4:5], v[24:25]
	v_fma_f64 v[4:5], v[55:56], s[2:3], v[16:17]
	v_fma_f64 v[16:17], v[55:56], s[12:13], v[16:17]
	;; [unrolled: 1-line block ×3, first 2 shown]
	ds_load_b128 v[22:25], v70 offset:1792
	ds_load_b128 v[55:58], v70 offset:2688
	;; [unrolled: 1-line block ×4, first 2 shown]
	s_waitcnt lgkmcnt(0)
	s_waitcnt_vscnt null, 0x0
	s_barrier
	buffer_gl0_inv
	ds_store_b128 v0, v[51:54]
	ds_store_b128 v0, v[59:62] offset:256
	scratch_store_b32 off, v0, off offset:568 ; 4-byte Folded Spill
	ds_store_b128 v0, v[63:66] offset:512
	v_lshrrev_b32_e32 v0, 4, v46
	s_delay_alu instid0(VALU_DEP_1) | instskip(NEXT) | instid1(VALU_DEP_1)
	v_mul_u32_u24_e32 v0, 48, v0
	v_or_b32_e32 v0, v0, v49
	v_fma_f64 v[106:107], v[104:105], -0.5, v[22:23]
	v_add_f64 v[104:105], v[8:9], v[20:21]
	s_delay_alu instid0(VALU_DEP_3)
	v_lshlrev_b32_e32 v0, 4, v0
	ds_store_b128 v0, v[10:13]
	ds_store_b128 v0, v[4:7] offset:256
	scratch_store_b32 off, v0, off offset:564 ; 4-byte Folded Spill
	ds_store_b128 v0, v[16:19] offset:512
	v_lshrrev_b32_e32 v0, 4, v71
	s_delay_alu instid0(VALU_DEP_1) | instskip(NEXT) | instid1(VALU_DEP_1)
	v_mul_u32_u24_e32 v0, 48, v0
	v_or_b32_e32 v0, v0, v47
	s_delay_alu instid0(VALU_DEP_1)
	v_lshlrev_b32_e32 v0, 4, v0
	v_fma_f64 v[114:115], v[104:105], -0.5, v[24:25]
	v_add_f64 v[24:25], v[24:25], v[8:9]
	v_add_f64 v[104:105], v[22:23], v[2:3]
	v_add_f64 v[8:9], v[8:9], -v[20:21]
	v_add_f64 v[2:3], v[2:3], -v[14:15]
	s_delay_alu instid0(VALU_DEP_4) | instskip(NEXT) | instid1(VALU_DEP_4)
	v_add_f64 v[22:23], v[24:25], v[20:21]
	v_add_f64 v[20:21], v[104:105], v[14:15]
	s_delay_alu instid0(VALU_DEP_4)
	v_fma_f64 v[104:105], v[8:9], s[2:3], v[106:107]
	v_fma_f64 v[112:113], v[8:9], s[12:13], v[106:107]
	;; [unrolled: 1-line block ×4, first 2 shown]
	v_add_f64 v[2:3], v[67:68], v[122:123]
	v_add_f64 v[8:9], v[120:121], v[124:125]
	;; [unrolled: 1-line block ×4, first 2 shown]
	ds_store_b128 v0, v[20:23]
	ds_store_b128 v0, v[104:107] offset:256
	scratch_store_b32 off, v0, off offset:560 ; 4-byte Folded Spill
	ds_store_b128 v0, v[112:115] offset:512
	v_fma_f64 v[2:3], v[2:3], -0.5, v[55:56]
	v_fma_f64 v[8:9], v[8:9], -0.5, v[57:58]
	v_add_f64 v[57:58], v[14:15], v[124:125]
	v_add_f64 v[14:15], v[67:68], -v[122:123]
	v_add_f64 v[55:56], v[24:25], v[122:123]
	v_add_f64 v[24:25], v[128:129], v[28:29]
	v_lshrrev_b32_e32 v0, 4, v45
	s_delay_alu instid0(VALU_DEP_1) | instskip(NEXT) | instid1(VALU_DEP_1)
	v_mul_u32_u24_e32 v0, 48, v0
	v_or_b32_e32 v0, v0, v50
	s_delay_alu instid0(VALU_DEP_1)
	v_lshlrev_b32_e32 v0, 4, v0
	v_fma_f64 v[120:121], v[126:127], s[2:3], v[2:3]
	v_fma_f64 v[124:125], v[126:127], s[12:13], v[2:3]
	v_add_f64 v[2:3], v[28:29], v[38:39]
	v_fma_f64 v[122:123], v[14:15], s[12:13], v[8:9]
	v_fma_f64 v[126:127], v[14:15], s[2:3], v[8:9]
	v_add_f64 v[8:9], v[34:35], v[40:41]
	v_add_f64 v[14:15], v[130:131], v[34:35]
	v_add_f64 v[34:35], v[34:35], -v[40:41]
	ds_store_b128 v0, v[55:58]
	ds_store_b128 v0, v[120:123] offset:256
	v_fma_f64 v[2:3], v[2:3], -0.5, v[128:129]
	v_add_f64 v[128:129], v[24:25], v[38:39]
	v_fma_f64 v[8:9], v[8:9], -0.5, v[130:131]
	v_add_f64 v[130:131], v[14:15], v[40:41]
	v_add_f64 v[14:15], v[28:29], -v[38:39]
	v_add_f64 v[24:25], v[132:133], v[26:27]
	scratch_store_b32 off, v0, off offset:556 ; 4-byte Folded Spill
	ds_store_b128 v0, v[124:127] offset:512
	v_lshrrev_b32_e32 v0, 4, v44
	s_delay_alu instid0(VALU_DEP_1) | instskip(NEXT) | instid1(VALU_DEP_1)
	v_mul_u32_u24_e32 v0, 48, v0
	v_or_b32_e32 v0, v0, v47
	s_delay_alu instid0(VALU_DEP_1)
	v_lshlrev_b32_e32 v0, 4, v0
	v_fma_f64 v[38:39], v[34:35], s[2:3], v[2:3]
	v_fma_f64 v[136:137], v[34:35], s[12:13], v[2:3]
	v_add_f64 v[2:3], v[26:27], v[32:33]
	v_add_f64 v[34:35], v[30:31], -v[36:37]
	v_fma_f64 v[40:41], v[14:15], s[12:13], v[8:9]
	v_fma_f64 v[138:139], v[14:15], s[2:3], v[8:9]
	v_add_f64 v[8:9], v[30:31], v[36:37]
	v_add_f64 v[14:15], v[134:135], v[30:31]
	;; [unrolled: 1-line block ×3, first 2 shown]
	ds_store_b128 v0, v[128:131]
	ds_store_b128 v0, v[38:41] offset:256
	v_fma_f64 v[2:3], v[2:3], -0.5, v[132:133]
	scratch_store_b32 off, v0, off offset:540 ; 4-byte Folded Spill
	v_fma_f64 v[8:9], v[8:9], -0.5, v[134:135]
	v_add_f64 v[30:31], v[14:15], v[36:37]
	v_add_f64 v[14:15], v[26:27], -v[32:33]
	ds_store_b128 v0, v[136:139] offset:512
	v_lshrrev_b32_e32 v0, 4, v43
	s_delay_alu instid0(VALU_DEP_1) | instskip(NEXT) | instid1(VALU_DEP_1)
	v_mul_u32_u24_e32 v0, 48, v0
	v_or_b32_e32 v0, v0, v48
	s_delay_alu instid0(VALU_DEP_1)
	v_lshlrev_b32_e32 v0, 4, v0
	v_fma_f64 v[24:25], v[34:35], s[2:3], v[2:3]
	v_fma_f64 v[32:33], v[34:35], s[12:13], v[2:3]
	;; [unrolled: 1-line block ×4, first 2 shown]
	ds_store_b128 v0, v[28:31]
	ds_store_b128 v0, v[24:27] offset:256
	s_clause 0x1
	scratch_store_b32 off, v0, off offset:536
	scratch_store_b32 off, v140, off
	ds_store_b128 v0, v[32:35] offset:512
	v_add_co_u32 v0, s14, 0xffffffd0, v140
	s_delay_alu instid0(VALU_DEP_1) | instskip(SKIP_2) | instid1(VALU_DEP_2)
	v_add_co_ci_u32_e64 v1, null, 0, -1, s14
	s_waitcnt lgkmcnt(0)
	s_waitcnt_vscnt null, 0x0
	v_cndmask_b32_e32 v2, v0, v140, vcc_lo
	s_barrier
	v_cndmask_b32_e64 v3, v1, 0, vcc_lo
	buffer_gl0_inv
	v_and_b32_e32 v0, 0xff, v46
	v_lshlrev_b64 v[3:4], 5, v[2:3]
	s_delay_alu instid0(VALU_DEP_2) | instskip(NEXT) | instid1(VALU_DEP_2)
	v_mul_lo_u16 v0, 0xab, v0
	v_add_co_u32 v3, vcc_lo, s10, v3
	s_delay_alu instid0(VALU_DEP_3)
	v_add_co_ci_u32_e32 v4, vcc_lo, s11, v4, vcc_lo
	s_clause 0x1
	global_load_b128 v[104:107], v[3:4], off offset:736
	global_load_b128 v[120:123], v[3:4], off offset:752
	ds_load_b128 v[3:6], v70 offset:5376
	ds_load_b128 v[7:10], v70 offset:6272
	v_lshrrev_b16 v0, 13, v0
	v_cmp_lt_u16_e32 vcc_lo, 47, v42
	s_delay_alu instid0(VALU_DEP_2) | instskip(SKIP_1) | instid1(VALU_DEP_2)
	v_mul_lo_u16 v1, v0, 48
	v_and_b32_e32 v0, 0xffff, v0
	v_sub_nc_u16 v1, v46, v1
	s_delay_alu instid0(VALU_DEP_2) | instskip(NEXT) | instid1(VALU_DEP_2)
	v_mul_u32_u24_e32 v0, 0x90, v0
	v_and_b32_e32 v1, 0xff, v1
	s_delay_alu instid0(VALU_DEP_1) | instskip(SKIP_2) | instid1(VALU_DEP_1)
	v_add_lshl_u32 v0, v0, v1, 4
	s_waitcnt vmcnt(1) lgkmcnt(1)
	v_mul_f64 v[11:12], v[5:6], v[106:107]
	v_fma_f64 v[15:16], v[3:4], v[104:105], -v[11:12]
	v_mul_f64 v[3:4], v[3:4], v[106:107]
	s_delay_alu instid0(VALU_DEP_1) | instskip(SKIP_4) | instid1(VALU_DEP_1)
	v_fma_f64 v[17:18], v[5:6], v[104:105], v[3:4]
	ds_load_b128 v[3:6], v70 offset:10752
	ds_load_b128 v[11:14], v70 offset:11648
	s_waitcnt vmcnt(0) lgkmcnt(1)
	v_mul_f64 v[19:20], v[5:6], v[122:123]
	v_fma_f64 v[19:20], v[3:4], v[120:121], -v[19:20]
	v_mul_f64 v[3:4], v[3:4], v[122:123]
	s_delay_alu instid0(VALU_DEP_1)
	v_fma_f64 v[21:22], v[5:6], v[120:121], v[3:4]
	v_lshlrev_b32_e32 v3, 5, v1
	s_clause 0x1
	global_load_b128 v[140:143], v3, s[10:11] offset:736
	global_load_b128 v[128:131], v3, s[10:11] offset:752
	s_waitcnt vmcnt(1)
	v_mul_f64 v[3:4], v[9:10], v[142:143]
	s_delay_alu instid0(VALU_DEP_1) | instskip(SKIP_1) | instid1(VALU_DEP_1)
	v_fma_f64 v[23:24], v[7:8], v[140:141], -v[3:4]
	v_mul_f64 v[3:4], v[7:8], v[142:143]
	v_fma_f64 v[25:26], v[9:10], v[140:141], v[3:4]
	s_waitcnt vmcnt(0) lgkmcnt(0)
	v_mul_f64 v[3:4], v[13:14], v[130:131]
	s_delay_alu instid0(VALU_DEP_1) | instskip(SKIP_1) | instid1(VALU_DEP_1)
	v_fma_f64 v[27:28], v[11:12], v[128:129], -v[3:4]
	v_mul_f64 v[3:4], v[11:12], v[130:131]
	v_fma_f64 v[29:30], v[13:14], v[128:129], v[3:4]
	v_and_b32_e32 v3, 0xff, v71
	s_delay_alu instid0(VALU_DEP_1) | instskip(NEXT) | instid1(VALU_DEP_1)
	v_mul_lo_u16 v3, 0xab, v3
	v_lshrrev_b16 v41, 13, v3
	s_delay_alu instid0(VALU_DEP_1) | instskip(NEXT) | instid1(VALU_DEP_1)
	v_mul_lo_u16 v3, v41, 48
	v_sub_nc_u16 v3, v71, v3
	s_delay_alu instid0(VALU_DEP_1) | instskip(NEXT) | instid1(VALU_DEP_1)
	v_and_b32_e32 v69, 0xff, v3
	v_lshlrev_b32_e32 v3, 5, v69
	s_clause 0x1
	global_load_b128 v[136:139], v3, s[10:11] offset:736
	global_load_b128 v[152:155], v3, s[10:11] offset:752
	ds_load_b128 v[3:6], v70 offset:7168
	ds_load_b128 v[7:10], v70 offset:8064
	s_waitcnt vmcnt(1) lgkmcnt(1)
	v_mul_f64 v[11:12], v[5:6], v[138:139]
	s_delay_alu instid0(VALU_DEP_1) | instskip(SKIP_1) | instid1(VALU_DEP_1)
	v_fma_f64 v[35:36], v[3:4], v[136:137], -v[11:12]
	v_mul_f64 v[3:4], v[3:4], v[138:139]
	v_fma_f64 v[37:38], v[5:6], v[136:137], v[3:4]
	ds_load_b128 v[3:6], v70 offset:12544
	ds_load_b128 v[11:14], v70 offset:13440
	s_waitcnt vmcnt(0) lgkmcnt(1)
	v_mul_f64 v[31:32], v[5:6], v[154:155]
	s_delay_alu instid0(VALU_DEP_1) | instskip(SKIP_1) | instid1(VALU_DEP_1)
	v_fma_f64 v[39:40], v[3:4], v[152:153], -v[31:32]
	v_mul_f64 v[3:4], v[3:4], v[154:155]
	v_fma_f64 v[46:47], v[5:6], v[152:153], v[3:4]
	v_and_b32_e32 v3, 0xff, v45
	s_delay_alu instid0(VALU_DEP_1) | instskip(NEXT) | instid1(VALU_DEP_1)
	v_mul_lo_u16 v3, 0xab, v3
	v_lshrrev_b16 v92, 13, v3
	s_delay_alu instid0(VALU_DEP_1) | instskip(NEXT) | instid1(VALU_DEP_1)
	v_mul_lo_u16 v3, v92, 48
	v_sub_nc_u16 v3, v45, v3
	s_delay_alu instid0(VALU_DEP_1) | instskip(NEXT) | instid1(VALU_DEP_1)
	v_and_b32_e32 v93, 0xff, v3
	v_lshlrev_b32_e32 v3, 5, v93
	s_clause 0x1
	global_load_b128 v[168:171], v3, s[10:11] offset:736
	global_load_b128 v[164:167], v3, s[10:11] offset:752
	v_add_f64 v[56:57], v[37:38], v[46:47]
	s_waitcnt vmcnt(1)
	v_mul_f64 v[3:4], v[9:10], v[170:171]
	s_delay_alu instid0(VALU_DEP_1) | instskip(SKIP_1) | instid1(VALU_DEP_1)
	v_fma_f64 v[48:49], v[7:8], v[168:169], -v[3:4]
	v_mul_f64 v[3:4], v[7:8], v[170:171]
	v_fma_f64 v[50:51], v[9:10], v[168:169], v[3:4]
	s_waitcnt vmcnt(0) lgkmcnt(0)
	v_mul_f64 v[3:4], v[13:14], v[166:167]
	s_delay_alu instid0(VALU_DEP_1) | instskip(SKIP_1) | instid1(VALU_DEP_1)
	v_fma_f64 v[52:53], v[11:12], v[164:165], -v[3:4]
	v_mul_f64 v[3:4], v[11:12], v[166:167]
	v_fma_f64 v[54:55], v[13:14], v[164:165], v[3:4]
	v_and_b32_e32 v3, 0xffff, v44
	s_delay_alu instid0(VALU_DEP_1) | instskip(NEXT) | instid1(VALU_DEP_1)
	v_mul_u32_u24_e32 v3, 0xaaab, v3
	v_lshrrev_b32_e32 v94, 21, v3
	s_delay_alu instid0(VALU_DEP_1) | instskip(NEXT) | instid1(VALU_DEP_1)
	v_mul_lo_u16 v3, v94, 48
	v_sub_nc_u16 v95, v44, v3
	s_delay_alu instid0(VALU_DEP_1) | instskip(NEXT) | instid1(VALU_DEP_1)
	v_lshlrev_b16 v3, 5, v95
	v_and_b32_e32 v3, 0xffff, v3
	s_delay_alu instid0(VALU_DEP_1) | instskip(NEXT) | instid1(VALU_DEP_1)
	v_add_co_u32 v3, s14, s10, v3
	v_add_co_ci_u32_e64 v4, null, s11, 0, s14
	s_clause 0x1
	global_load_b128 v[172:175], v[3:4], off offset:736
	global_load_b128 v[176:179], v[3:4], off offset:752
	ds_load_b128 v[3:6], v70 offset:8960
	ds_load_b128 v[7:10], v70 offset:9856
	s_waitcnt vmcnt(1) lgkmcnt(1)
	v_mul_f64 v[11:12], v[5:6], v[174:175]
	s_delay_alu instid0(VALU_DEP_1) | instskip(SKIP_1) | instid1(VALU_DEP_1)
	v_fma_f64 v[63:64], v[3:4], v[172:173], -v[11:12]
	v_mul_f64 v[3:4], v[3:4], v[174:175]
	v_fma_f64 v[65:66], v[5:6], v[172:173], v[3:4]
	ds_load_b128 v[3:6], v70 offset:14336
	ds_load_b128 v[11:14], v70 offset:15232
	s_waitcnt vmcnt(0) lgkmcnt(1)
	v_mul_f64 v[31:32], v[5:6], v[178:179]
	s_delay_alu instid0(VALU_DEP_1) | instskip(SKIP_1) | instid1(VALU_DEP_1)
	v_fma_f64 v[67:68], v[3:4], v[176:177], -v[31:32]
	v_mul_f64 v[3:4], v[3:4], v[178:179]
	v_fma_f64 v[124:125], v[5:6], v[176:177], v[3:4]
	v_and_b32_e32 v3, 0xffff, v43
	s_delay_alu instid0(VALU_DEP_1) | instskip(NEXT) | instid1(VALU_DEP_1)
	v_mul_u32_u24_e32 v3, 0xaaab, v3
	v_lshrrev_b32_e32 v96, 21, v3
	s_delay_alu instid0(VALU_DEP_1) | instskip(NEXT) | instid1(VALU_DEP_1)
	v_mul_lo_u16 v3, v96, 48
	v_sub_nc_u16 v97, v43, v3
	v_add_f64 v[43:44], v[35:36], v[39:40]
	s_delay_alu instid0(VALU_DEP_2) | instskip(NEXT) | instid1(VALU_DEP_1)
	v_lshlrev_b16 v3, 5, v97
	v_and_b32_e32 v3, 0xffff, v3
	s_delay_alu instid0(VALU_DEP_1) | instskip(NEXT) | instid1(VALU_DEP_1)
	v_add_co_u32 v3, s14, s10, v3
	v_add_co_ci_u32_e64 v4, null, s11, 0, s14
	s_clause 0x1
	global_load_b128 v[180:183], v[3:4], off offset:736
	global_load_b128 v[112:115], v[3:4], off offset:752
	v_add_f64 v[146:147], v[65:66], v[124:125]
	s_waitcnt vmcnt(1)
	v_mul_f64 v[3:4], v[9:10], v[182:183]
	s_delay_alu instid0(VALU_DEP_1) | instskip(SKIP_1) | instid1(VALU_DEP_1)
	v_fma_f64 v[126:127], v[7:8], v[180:181], -v[3:4]
	v_mul_f64 v[3:4], v[7:8], v[182:183]
	v_fma_f64 v[132:133], v[9:10], v[180:181], v[3:4]
	s_waitcnt vmcnt(0) lgkmcnt(0)
	v_mul_f64 v[3:4], v[13:14], v[114:115]
	s_delay_alu instid0(VALU_DEP_1) | instskip(SKIP_2) | instid1(VALU_DEP_2)
	v_fma_f64 v[134:135], v[11:12], v[112:113], -v[3:4]
	v_mul_f64 v[3:4], v[11:12], v[114:115]
	v_add_f64 v[11:12], v[15:16], v[19:20]
	v_fma_f64 v[144:145], v[13:14], v[112:113], v[3:4]
	ds_load_b128 v[3:6], v70
	ds_load_b128 v[7:10], v70 offset:896
	s_waitcnt lgkmcnt(1)
	v_fma_f64 v[13:14], v[11:12], -0.5, v[3:4]
	v_add_f64 v[11:12], v[17:18], v[21:22]
	v_add_f64 v[3:4], v[3:4], v[15:16]
	s_delay_alu instid0(VALU_DEP_2) | instskip(SKIP_2) | instid1(VALU_DEP_4)
	v_fma_f64 v[31:32], v[11:12], -0.5, v[5:6]
	v_add_f64 v[5:6], v[5:6], v[17:18]
	v_add_f64 v[17:18], v[17:18], -v[21:22]
	v_add_f64 v[3:4], v[3:4], v[19:20]
	v_add_f64 v[19:20], v[15:16], -v[19:20]
	s_delay_alu instid0(VALU_DEP_4) | instskip(NEXT) | instid1(VALU_DEP_4)
	v_add_f64 v[5:6], v[5:6], v[21:22]
	v_fma_f64 v[11:12], v[17:18], s[2:3], v[13:14]
	v_fma_f64 v[15:16], v[17:18], s[12:13], v[13:14]
	s_delay_alu instid0(VALU_DEP_4) | instskip(SKIP_3) | instid1(VALU_DEP_1)
	v_fma_f64 v[13:14], v[19:20], s[12:13], v[31:32]
	v_fma_f64 v[17:18], v[19:20], s[2:3], v[31:32]
	v_add_f64 v[19:20], v[23:24], v[27:28]
	s_waitcnt lgkmcnt(0)
	v_fma_f64 v[21:22], v[19:20], -0.5, v[7:8]
	v_add_f64 v[19:20], v[25:26], v[29:30]
	v_add_f64 v[7:8], v[7:8], v[23:24]
	s_delay_alu instid0(VALU_DEP_2) | instskip(SKIP_2) | instid1(VALU_DEP_4)
	v_fma_f64 v[31:32], v[19:20], -0.5, v[9:10]
	v_add_f64 v[9:10], v[9:10], v[25:26]
	v_add_f64 v[25:26], v[25:26], -v[29:30]
	v_add_f64 v[7:8], v[7:8], v[27:28]
	v_add_f64 v[27:28], v[23:24], -v[27:28]
	s_delay_alu instid0(VALU_DEP_4) | instskip(NEXT) | instid1(VALU_DEP_4)
	v_add_f64 v[9:10], v[9:10], v[29:30]
	v_fma_f64 v[19:20], v[25:26], s[2:3], v[21:22]
	v_fma_f64 v[23:24], v[25:26], s[12:13], v[21:22]
	s_delay_alu instid0(VALU_DEP_4)
	v_fma_f64 v[21:22], v[27:28], s[12:13], v[31:32]
	v_fma_f64 v[25:26], v[27:28], s[2:3], v[31:32]
	ds_load_b128 v[27:30], v70 offset:1792
	ds_load_b128 v[31:34], v70 offset:2688
	s_waitcnt lgkmcnt(1)
	v_fma_f64 v[43:44], v[43:44], -0.5, v[27:28]
	v_add_f64 v[27:28], v[27:28], v[35:36]
	v_fma_f64 v[56:57], v[56:57], -0.5, v[29:30]
	v_add_f64 v[29:30], v[29:30], v[37:38]
	v_add_f64 v[37:38], v[37:38], -v[46:47]
	s_delay_alu instid0(VALU_DEP_4) | instskip(SKIP_1) | instid1(VALU_DEP_4)
	v_add_f64 v[27:28], v[27:28], v[39:40]
	v_add_f64 v[39:40], v[35:36], -v[39:40]
	v_add_f64 v[29:30], v[29:30], v[46:47]
	s_delay_alu instid0(VALU_DEP_4) | instskip(SKIP_1) | instid1(VALU_DEP_4)
	v_fma_f64 v[35:36], v[37:38], s[2:3], v[43:44]
	v_fma_f64 v[43:44], v[37:38], s[12:13], v[43:44]
	;; [unrolled: 1-line block ×4, first 2 shown]
	v_add_f64 v[39:40], v[48:49], v[52:53]
	v_add_f64 v[56:57], v[50:51], v[54:55]
	s_waitcnt lgkmcnt(0)
	s_delay_alu instid0(VALU_DEP_2) | instskip(NEXT) | instid1(VALU_DEP_2)
	v_fma_f64 v[39:40], v[39:40], -0.5, v[31:32]
	v_fma_f64 v[56:57], v[56:57], -0.5, v[33:34]
	v_add_f64 v[33:34], v[33:34], v[50:51]
	v_add_f64 v[31:32], v[31:32], v[48:49]
	v_add_f64 v[50:51], v[50:51], -v[54:55]
	s_delay_alu instid0(VALU_DEP_3) | instskip(NEXT) | instid1(VALU_DEP_3)
	v_add_f64 v[33:34], v[33:34], v[54:55]
	v_add_f64 v[31:32], v[31:32], v[52:53]
	v_add_f64 v[53:54], v[48:49], -v[52:53]
	s_delay_alu instid0(VALU_DEP_4) | instskip(SKIP_2) | instid1(VALU_DEP_4)
	v_fma_f64 v[47:48], v[50:51], s[2:3], v[39:40]
	v_fma_f64 v[51:52], v[50:51], s[12:13], v[39:40]
	v_add_f64 v[39:40], v[63:64], v[67:68]
	v_fma_f64 v[49:50], v[53:54], s[12:13], v[56:57]
	v_fma_f64 v[53:54], v[53:54], s[2:3], v[56:57]
	ds_load_b128 v[55:58], v70 offset:3584
	ds_load_b128 v[59:62], v70 offset:4480
	s_waitcnt lgkmcnt(0)
	s_barrier
	buffer_gl0_inv
	v_fma_f64 v[39:40], v[39:40], -0.5, v[55:56]
	v_add_f64 v[55:56], v[55:56], v[63:64]
	v_fma_f64 v[146:147], v[146:147], -0.5, v[57:58]
	v_add_f64 v[57:58], v[57:58], v[65:66]
	v_add_f64 v[65:66], v[65:66], -v[124:125]
	s_delay_alu instid0(VALU_DEP_4) | instskip(SKIP_1) | instid1(VALU_DEP_4)
	v_add_f64 v[55:56], v[55:56], v[67:68]
	v_add_f64 v[67:68], v[63:64], -v[67:68]
	v_add_f64 v[57:58], v[57:58], v[124:125]
	s_delay_alu instid0(VALU_DEP_4)
	v_fma_f64 v[63:64], v[65:66], s[2:3], v[39:40]
	v_fma_f64 v[232:233], v[65:66], s[12:13], v[39:40]
	v_add_f64 v[39:40], v[126:127], v[134:135]
	v_add_f64 v[124:125], v[132:133], -v[144:145]
	v_fma_f64 v[65:66], v[67:68], s[12:13], v[146:147]
	v_fma_f64 v[234:235], v[67:68], s[2:3], v[146:147]
	v_add_f64 v[67:68], v[132:133], v[144:145]
	v_fma_f64 v[39:40], v[39:40], -0.5, v[59:60]
	v_add_f64 v[59:60], v[59:60], v[126:127]
	s_delay_alu instid0(VALU_DEP_3) | instskip(SKIP_1) | instid1(VALU_DEP_4)
	v_fma_f64 v[67:68], v[67:68], -0.5, v[61:62]
	v_add_f64 v[61:62], v[61:62], v[132:133]
	v_fma_f64 v[148:149], v[124:125], s[2:3], v[39:40]
	v_fma_f64 v[244:245], v[124:125], s[12:13], v[39:40]
	v_cndmask_b32_e64 v39, 0, 0x90, vcc_lo
	v_cmp_gt_u16_e32 vcc_lo, 32, v42
	s_delay_alu instid0(VALU_DEP_2)
	v_add_lshl_u32 v2, v2, v39, 4
	ds_store_b128 v2, v[3:6]
	ds_store_b128 v2, v[11:14] offset:768
	scratch_store_b32 off, v2, off offset:544 ; 4-byte Folded Spill
	ds_store_b128 v2, v[15:18] offset:1536
	ds_store_b128 v0, v[7:10]
	ds_store_b128 v0, v[19:22] offset:768
	scratch_store_b32 off, v0, off offset:524 ; 4-byte Folded Spill
	ds_store_b128 v0, v[23:26] offset:1536
	v_and_b32_e32 v0, 0xffff, v41
	s_delay_alu instid0(VALU_DEP_1) | instskip(NEXT) | instid1(VALU_DEP_1)
	v_mul_u32_u24_e32 v0, 0x90, v0
	v_add_lshl_u32 v0, v0, v69, 4
	ds_store_b128 v0, v[27:30]
	ds_store_b128 v0, v[35:38] offset:768
	scratch_store_b32 off, v0, off offset:528 ; 4-byte Folded Spill
	ds_store_b128 v0, v[43:46] offset:1536
	v_and_b32_e32 v0, 0xffff, v92
	v_add_f64 v[146:147], v[61:62], v[144:145]
	v_add_f64 v[144:145], v[59:60], v[134:135]
	v_add_f64 v[59:60], v[126:127], -v[134:135]
	s_delay_alu instid0(VALU_DEP_4) | instskip(NEXT) | instid1(VALU_DEP_1)
	v_mul_u32_u24_e32 v0, 0x90, v0
	v_add_lshl_u32 v0, v0, v93, 4
	ds_store_b128 v0, v[31:34]
	ds_store_b128 v0, v[47:50] offset:768
	scratch_store_b32 off, v0, off offset:532 ; 4-byte Folded Spill
	ds_store_b128 v0, v[51:54] offset:1536
	v_mad_u16 v0, 0x90, v94, v95
	s_delay_alu instid0(VALU_DEP_1) | instskip(NEXT) | instid1(VALU_DEP_1)
	v_and_b32_e32 v0, 0xffff, v0
	v_lshlrev_b32_e32 v4, 4, v0
	v_mad_u16 v0, 0x90, v96, v97
	ds_store_b128 v4, v[55:58]
	ds_store_b128 v4, v[63:66] offset:768
	v_and_b32_e32 v0, 0xffff, v0
	scratch_store_b32 off, v4, off offset:552 ; 4-byte Folded Spill
	v_lshlrev_b32_e32 v1, 4, v0
	v_fma_f64 v[246:247], v[59:60], s[2:3], v[67:68]
	v_fma_f64 v[150:151], v[59:60], s[12:13], v[67:68]
	ds_store_b128 v4, v[232:235] offset:1536
	ds_store_b128 v1, v[144:147]
	ds_store_b128 v1, v[148:151] offset:768
	scratch_store_b32 off, v1, off offset:548 ; 4-byte Folded Spill
	ds_store_b128 v1, v[244:247] offset:1536
	s_waitcnt lgkmcnt(0)
	s_waitcnt_vscnt null, 0x0
	s_barrier
	buffer_gl0_inv
	ds_load_b128 v[240:243], v70
	ds_load_b128 v[236:239], v70 offset:896
	ds_load_b128 v[200:203], v70 offset:2304
	;; [unrolled: 1-line block ×13, first 2 shown]
	s_load_b64 s[2:3], s[0:1], 0x38
	s_and_saveexec_b32 s0, vcc_lo
	s_cbranch_execz .LBB0_3
; %bb.2:
	ds_load_b128 v[232:235], v70 offset:1792
	ds_load_b128 v[144:147], v70 offset:4096
	;; [unrolled: 1-line block ×7, first 2 shown]
.LBB0_3:
	s_or_b32 exec_lo, exec_lo, s0
	scratch_load_b32 v0, off, off           ; 4-byte Folded Reload
	s_mov_b32 s16, 0xe976ee23
	s_mov_b32 s17, 0xbfe11646
	s_mov_b32 s14, 0x429ad128
	s_mov_b32 s12, 0x5476071b
	s_mov_b32 s15, 0x3febfeb5
	s_mov_b32 s13, 0x3fe77f67
	s_mov_b32 s18, 0x37c3f68c
	s_mov_b32 s19, 0x3fdc38aa
	s_mov_b32 s20, 0x37e14327
	s_mov_b32 s21, 0x3fe948f6
	s_mov_b32 s24, 0xb247c609
	s_mov_b32 s23, 0xbfe77f67
	s_mov_b32 s25, 0x3fd5d0dc
	s_mov_b32 s27, 0xbfd5d0dc
	s_mov_b32 s26, s24
	s_mov_b32 s22, s12
	s_waitcnt vmcnt(0)
	v_mad_u64_u32 v[2:3], null, 0x60, v0, s[10:11]
	v_subrev_nc_u32_e32 v0, 32, v0
	s_clause 0x1
	global_load_b128 v[184:187], v[2:3], off offset:2272
	global_load_b128 v[188:191], v[2:3], off offset:2288
	v_cndmask_b32_e32 v0, v0, v71, vcc_lo
	s_delay_alu instid0(VALU_DEP_1) | instskip(SKIP_3) | instid1(VALU_DEP_1)
	v_mul_i32_i24_e32 v1, 0x60, v0
	v_mul_hi_i32_i24_e32 v0, 0x60, v0
	s_waitcnt vmcnt(1) lgkmcnt(0)
	v_mul_f64 v[4:5], v[202:203], v[186:187]
	v_fma_f64 v[50:51], v[200:201], v[184:185], -v[4:5]
	v_mul_f64 v[4:5], v[200:201], v[186:187]
	s_delay_alu instid0(VALU_DEP_1) | instskip(SKIP_2) | instid1(VALU_DEP_1)
	v_fma_f64 v[52:53], v[202:203], v[184:185], v[4:5]
	s_waitcnt vmcnt(0)
	v_mul_f64 v[4:5], v[198:199], v[190:191]
	v_fma_f64 v[54:55], v[196:197], v[188:189], -v[4:5]
	v_mul_f64 v[4:5], v[196:197], v[190:191]
	s_delay_alu instid0(VALU_DEP_1)
	v_fma_f64 v[56:57], v[198:199], v[188:189], v[4:5]
	s_clause 0x1
	global_load_b128 v[196:199], v[2:3], off offset:2352
	global_load_b128 v[200:203], v[2:3], off offset:2336
	s_waitcnt vmcnt(1)
	v_mul_f64 v[4:5], v[206:207], v[198:199]
	s_delay_alu instid0(VALU_DEP_1) | instskip(SKIP_1) | instid1(VALU_DEP_1)
	v_fma_f64 v[58:59], v[204:205], v[196:197], -v[4:5]
	v_mul_f64 v[4:5], v[204:205], v[198:199]
	v_fma_f64 v[60:61], v[206:207], v[196:197], v[4:5]
	s_waitcnt vmcnt(0)
	v_mul_f64 v[4:5], v[194:195], v[202:203]
	s_delay_alu instid0(VALU_DEP_1) | instskip(SKIP_1) | instid1(VALU_DEP_1)
	v_fma_f64 v[62:63], v[192:193], v[200:201], -v[4:5]
	v_mul_f64 v[4:5], v[192:193], v[202:203]
	v_fma_f64 v[64:65], v[194:195], v[200:201], v[4:5]
	s_clause 0x1
	global_load_b128 v[192:195], v[2:3], off offset:2304
	global_load_b128 v[204:207], v[2:3], off offset:2320
	v_add_co_u32 v2, s0, 0x1500, v2
	s_delay_alu instid0(VALU_DEP_1) | instskip(SKIP_1) | instid1(VALU_DEP_1)
	v_add_co_ci_u32_e64 v3, s0, 0, v3, s0
	v_add_co_u32 v18, s0, s10, v1
	v_add_co_ci_u32_e64 v19, s0, s11, v0, s0
	v_add_f64 v[0:1], v[52:53], v[60:61]
	v_add_f64 v[60:61], v[52:53], -v[60:61]
	s_mov_b32 s10, 0x36b3c0b5
	s_mov_b32 s11, 0x3fac98ee
	;; [unrolled: 1-line block ×4, first 2 shown]
	s_waitcnt vmcnt(1)
	v_mul_f64 v[4:5], v[214:215], v[194:195]
	s_delay_alu instid0(VALU_DEP_1) | instskip(SKIP_1) | instid1(VALU_DEP_1)
	v_fma_f64 v[68:69], v[212:213], v[192:193], -v[4:5]
	v_mul_f64 v[4:5], v[212:213], v[194:195]
	v_fma_f64 v[66:67], v[214:215], v[192:193], v[4:5]
	s_waitcnt vmcnt(0)
	v_mul_f64 v[4:5], v[210:211], v[206:207]
	s_delay_alu instid0(VALU_DEP_1) | instskip(SKIP_1) | instid1(VALU_DEP_1)
	v_fma_f64 v[252:253], v[208:209], v[204:205], -v[4:5]
	v_mul_f64 v[4:5], v[208:209], v[206:207]
	v_fma_f64 v[254:255], v[210:211], v[204:205], v[4:5]
	s_clause 0x1
	global_load_b128 v[208:211], v[2:3], off offset:2272
	global_load_b128 v[212:215], v[2:3], off offset:2288
	s_waitcnt vmcnt(1)
	v_mul_f64 v[4:5], v[226:227], v[210:211]
	s_delay_alu instid0(VALU_DEP_1) | instskip(SKIP_1) | instid1(VALU_DEP_1)
	v_fma_f64 v[26:27], v[224:225], v[208:209], -v[4:5]
	v_mul_f64 v[4:5], v[224:225], v[210:211]
	v_fma_f64 v[28:29], v[226:227], v[208:209], v[4:5]
	s_waitcnt vmcnt(0)
	v_mul_f64 v[4:5], v[222:223], v[214:215]
	s_delay_alu instid0(VALU_DEP_1) | instskip(SKIP_1) | instid1(VALU_DEP_1)
	v_fma_f64 v[30:31], v[220:221], v[212:213], -v[4:5]
	v_mul_f64 v[4:5], v[220:221], v[214:215]
	v_fma_f64 v[32:33], v[222:223], v[212:213], v[4:5]
	s_clause 0x1
	global_load_b128 v[220:223], v[2:3], off offset:2352
	global_load_b128 v[224:227], v[2:3], off offset:2336
	;; [unrolled: 15-line block ×3, first 2 shown]
	global_load_b128 v[6:9], v[18:19], off offset:2272
	global_load_b128 v[10:13], v[18:19], off offset:2288
	s_waitcnt vmcnt(3)
	v_mul_f64 v[2:3], v[134:135], v[218:219]
	s_waitcnt vmcnt(1)
	scratch_store_b128 off, v[6:9], off offset:572 ; 16-byte Folded Spill
	s_waitcnt vmcnt(0)
	scratch_store_b128 off, v[10:13], off offset:588 ; 16-byte Folded Spill
	s_clause 0x1
	global_load_b128 v[14:17], v[18:19], off offset:2352
	global_load_b128 v[20:23], v[18:19], off offset:2336
	v_mul_f64 v[4:5], v[144:145], v[8:9]
	v_fma_f64 v[44:45], v[132:133], v[216:217], -v[2:3]
	v_mul_f64 v[2:3], v[132:133], v[218:219]
	s_delay_alu instid0(VALU_DEP_3) | instskip(NEXT) | instid1(VALU_DEP_2)
	v_fma_f64 v[4:5], v[146:147], v[6:7], v[4:5]
	v_fma_f64 v[42:43], v[134:135], v[216:217], v[2:3]
	v_mul_f64 v[2:3], v[126:127], v[230:231]
	v_add_f64 v[134:135], v[26:27], v[34:35]
	v_add_f64 v[34:35], v[26:27], -v[34:35]
	s_delay_alu instid0(VALU_DEP_3) | instskip(SKIP_4) | instid1(VALU_DEP_4)
	v_fma_f64 v[48:49], v[124:125], v[228:229], -v[2:3]
	v_mul_f64 v[2:3], v[124:125], v[230:231]
	v_add_f64 v[124:125], v[56:57], v[64:65]
	v_add_f64 v[56:57], v[56:57], -v[64:65]
	v_add_f64 v[64:65], v[254:255], -v[66:67]
	v_fma_f64 v[46:47], v[126:127], v[228:229], v[2:3]
	v_mul_f64 v[2:3], v[146:147], v[8:9]
	v_add_f64 v[126:127], v[66:67], v[254:255]
	v_add_f64 v[132:133], v[124:125], v[0:1]
	v_add_f64 v[254:255], v[56:57], -v[60:61]
	v_add_f64 v[146:147], v[44:45], v[48:49]
	v_fma_f64 v[2:3], v[144:145], v[6:7], -v[2:3]
	v_mul_f64 v[6:7], v[150:151], v[12:13]
	v_add_f64 v[132:133], v[126:127], v[132:133]
	v_add_f64 v[144:145], v[30:31], v[38:39]
	s_delay_alu instid0(VALU_DEP_3) | instskip(SKIP_1) | instid1(VALU_DEP_4)
	v_fma_f64 v[8:9], v[148:149], v[10:11], -v[6:7]
	v_mul_f64 v[6:7], v[148:149], v[12:13]
	v_add_f64 v[242:243], v[242:243], v[132:133]
	s_delay_alu instid0(VALU_DEP_4) | instskip(NEXT) | instid1(VALU_DEP_3)
	v_add_f64 v[148:149], v[144:145], v[134:135]
	v_fma_f64 v[6:7], v[150:151], v[10:11], v[6:7]
	s_delay_alu instid0(VALU_DEP_3) | instskip(SKIP_3) | instid1(VALU_DEP_1)
	v_fma_f64 v[132:133], v[132:133], s[0:1], v[242:243]
	v_add_f64 v[150:151], v[28:29], v[36:37]
	v_add_f64 v[36:37], v[28:29], -v[36:37]
	v_add_f64 v[148:149], v[146:147], v[148:149]
	v_add_f64 v[236:237], v[236:237], v[148:149]
	s_waitcnt vmcnt(1)
	v_mul_f64 v[10:11], v[162:163], v[16:17]
	v_mul_f64 v[12:13], v[160:161], v[16:17]
	scratch_store_b128 off, v[14:17], off offset:604 ; 16-byte Folded Spill
	s_waitcnt vmcnt(0)
	scratch_store_b128 off, v[20:23], off offset:620 ; 16-byte Folded Spill
	v_fma_f64 v[10:11], v[160:161], v[14:15], -v[10:11]
	v_fma_f64 v[12:13], v[162:163], v[14:15], v[12:13]
	v_mul_f64 v[14:15], v[158:159], v[22:23]
	v_add_f64 v[162:163], v[124:125], -v[0:1]
	v_add_f64 v[124:125], v[126:127], -v[124:125]
	v_add_f64 v[0:1], v[0:1], -v[126:127]
	v_add_f64 v[126:127], v[60:61], -v[64:65]
	v_fma_f64 v[16:17], v[156:157], v[20:21], -v[14:15]
	v_mul_f64 v[14:15], v[156:157], v[22:23]
	s_clause 0x1
	global_load_b128 v[22:25], v[18:19], off offset:2304
	global_load_b128 v[92:95], v[18:19], off offset:2320
	v_mul_f64 v[0:1], v[0:1], s[20:21]
	v_add_f64 v[156:157], v[32:33], v[40:41]
	v_fma_f64 v[14:15], v[158:159], v[20:21], v[14:15]
	v_add_f64 v[158:159], v[42:43], v[46:47]
	s_delay_alu instid0(VALU_DEP_3) | instskip(NEXT) | instid1(VALU_DEP_1)
	v_add_f64 v[160:161], v[156:157], v[150:151]
	v_add_f64 v[160:161], v[158:159], v[160:161]
	s_delay_alu instid0(VALU_DEP_1)
	v_add_f64 v[238:239], v[238:239], v[160:161]
	s_waitcnt vmcnt(1)
	v_mul_f64 v[18:19], v[246:247], v[24:25]
	scratch_store_b128 off, v[22:25], off offset:636 ; 16-byte Folded Spill
	s_waitcnt vmcnt(0)
	scratch_store_b128 off, v[92:95], off offset:652 ; 16-byte Folded Spill
	v_fma_f64 v[20:21], v[244:245], v[22:23], -v[18:19]
	v_mul_f64 v[18:19], v[244:245], v[24:25]
	v_add_f64 v[244:245], v[50:51], v[58:59]
	v_add_f64 v[58:59], v[50:51], -v[58:59]
	s_delay_alu instid0(VALU_DEP_3) | instskip(SKIP_4) | instid1(VALU_DEP_4)
	v_fma_f64 v[18:19], v[246:247], v[22:23], v[18:19]
	v_mul_f64 v[22:23], v[250:251], v[94:95]
	v_add_f64 v[246:247], v[54:55], v[62:63]
	v_add_f64 v[54:55], v[54:55], -v[62:63]
	v_add_f64 v[62:63], v[252:253], -v[68:69]
	v_fma_f64 v[24:25], v[248:249], v[92:93], -v[22:23]
	v_mul_f64 v[22:23], v[248:249], v[94:95]
	v_add_f64 v[248:249], v[68:69], v[252:253]
	s_delay_alu instid0(VALU_DEP_4)
	v_add_f64 v[52:53], v[62:63], -v[54:55]
	v_add_f64 v[66:67], v[246:247], -v[244:245]
	v_add_f64 v[50:51], v[62:63], v[54:55]
	v_add_f64 v[252:253], v[64:65], v[56:57]
	v_add_f64 v[102:103], v[58:59], -v[62:63]
	v_fma_f64 v[22:23], v[250:251], v[92:93], v[22:23]
	v_add_f64 v[250:251], v[246:247], v[244:245]
	v_add_f64 v[68:69], v[248:249], -v[246:247]
	v_add_f64 v[246:247], v[54:55], -v[58:59]
	;; [unrolled: 1-line block ×3, first 2 shown]
	v_mul_f64 v[92:93], v[52:53], s[16:17]
	v_mul_f64 v[52:53], v[124:125], s[10:11]
	v_add_f64 v[96:97], v[50:51], v[58:59]
	v_add_f64 v[98:99], v[252:253], v[60:61]
	v_mul_f64 v[60:61], v[254:255], s[14:15]
	v_fma_f64 v[64:65], v[162:163], s[22:23], -v[0:1]
	v_fma_f64 v[0:1], v[124:125], s[10:11], v[0:1]
	v_fma_f64 v[124:125], v[160:161], s[0:1], v[238:239]
	v_add_f64 v[250:251], v[248:249], v[250:251]
	v_mul_f64 v[50:51], v[68:69], s[10:11]
	v_mul_f64 v[58:59], v[246:247], s[14:15]
	;; [unrolled: 1-line block ×3, first 2 shown]
	v_fma_f64 v[54:55], v[246:247], s[14:15], -v[92:93]
	v_fma_f64 v[52:53], v[162:163], s[12:13], -v[52:53]
	;; [unrolled: 1-line block ×3, first 2 shown]
	v_add_f64 v[64:65], v[64:65], v[132:133]
	v_add_f64 v[0:1], v[0:1], v[132:133]
	;; [unrolled: 1-line block ×3, first 2 shown]
	v_fma_f64 v[50:51], v[66:67], s[12:13], -v[50:51]
	v_fma_f64 v[58:59], v[102:103], s[26:27], -v[58:59]
	v_fma_f64 v[56:57], v[96:97], s[18:19], v[54:55]
	v_add_f64 v[100:101], v[52:53], v[132:133]
	v_fma_f64 v[54:55], v[254:255], s[14:15], -v[94:95]
	v_fma_f64 v[162:163], v[98:99], s[18:19], v[60:61]
	v_fma_f64 v[250:251], v[250:251], s[0:1], v[240:241]
	s_delay_alu instid0(VALU_DEP_4) | instskip(SKIP_4) | instid1(VALU_DEP_3)
	v_add_f64 v[52:53], v[56:57], v[100:101]
	v_add_f64 v[56:57], v[100:101], -v[56:57]
	v_add_f64 v[100:101], v[244:245], -v[248:249]
	v_fma_f64 v[54:55], v[98:99], s[18:19], v[54:55]
	v_add_f64 v[252:253], v[50:51], v[250:251]
	v_mul_f64 v[100:101], v[100:101], s[20:21]
	s_delay_alu instid0(VALU_DEP_2) | instskip(SKIP_1) | instid1(VALU_DEP_3)
	v_add_f64 v[50:51], v[252:253], -v[54:55]
	v_add_f64 v[54:55], v[54:55], v[252:253]
	v_fma_f64 v[62:63], v[66:67], s[22:23], -v[100:101]
	v_fma_f64 v[66:67], v[96:97], s[18:19], v[58:59]
	v_fma_f64 v[68:69], v[68:69], s[10:11], v[100:101]
	s_delay_alu instid0(VALU_DEP_3) | instskip(NEXT) | instid1(VALU_DEP_3)
	v_add_f64 v[62:63], v[62:63], v[250:251]
	v_add_f64 v[60:61], v[64:65], -v[66:67]
	v_add_f64 v[64:65], v[66:67], v[64:65]
	v_fma_f64 v[66:67], v[102:103], s[24:25], v[92:93]
	v_fma_f64 v[92:93], v[126:127], s[24:25], v[94:95]
	;; [unrolled: 1-line block ×3, first 2 shown]
	v_add_f64 v[58:59], v[162:163], v[62:63]
	v_add_f64 v[62:63], v[62:63], -v[162:163]
	v_fma_f64 v[94:95], v[96:97], s[18:19], v[66:67]
	v_add_f64 v[96:97], v[68:69], v[250:251]
	v_fma_f64 v[92:93], v[98:99], s[18:19], v[92:93]
	s_delay_alu instid0(VALU_DEP_3)
	v_add_f64 v[68:69], v[0:1], -v[94:95]
	v_add_f64 v[250:251], v[94:95], v[0:1]
	v_add_f64 v[0:1], v[30:31], -v[38:39]
	v_add_f64 v[38:39], v[48:49], -v[44:45]
	;; [unrolled: 1-line block ×5, first 2 shown]
	v_add_f64 v[66:67], v[92:93], v[96:97]
	v_add_f64 v[248:249], v[96:97], -v[92:93]
	v_add_f64 v[42:43], v[144:145], -v[134:135]
	;; [unrolled: 1-line block ×5, first 2 shown]
	v_add_f64 v[26:27], v[38:39], v[0:1]
	v_add_f64 v[0:1], v[0:1], -v[34:35]
	v_add_f64 v[32:33], v[40:41], -v[30:31]
	v_add_f64 v[92:93], v[40:41], v[30:31]
	v_add_f64 v[94:95], v[30:31], -v[36:37]
	v_add_f64 v[144:145], v[36:37], -v[40:41]
	v_mul_f64 v[98:99], v[28:29], s[16:17]
	v_add_f64 v[96:97], v[26:27], v[34:35]
	v_mul_f64 v[26:27], v[44:45], s[10:11]
	v_mul_f64 v[100:101], v[32:33], s[16:17]
	v_add_f64 v[92:93], v[92:93], v[36:37]
	v_mul_f64 v[28:29], v[48:49], s[10:11]
	v_fma_f64 v[30:31], v[0:1], s[14:15], -v[98:99]
	v_mul_f64 v[0:1], v[0:1], s[14:15]
	v_fma_f64 v[26:27], v[42:43], s[12:13], -v[26:27]
	s_delay_alu instid0(VALU_DEP_4) | instskip(NEXT) | instid1(VALU_DEP_4)
	v_fma_f64 v[28:29], v[46:47], s[12:13], -v[28:29]
	v_fma_f64 v[32:33], v[96:97], s[18:19], v[30:31]
	v_fma_f64 v[30:31], v[94:95], s[14:15], -v[100:101]
	s_delay_alu instid0(VALU_DEP_4) | instskip(NEXT) | instid1(VALU_DEP_4)
	v_add_f64 v[126:127], v[26:27], v[102:103]
	v_add_f64 v[132:133], v[28:29], v[124:125]
	s_delay_alu instid0(VALU_DEP_3) | instskip(NEXT) | instid1(VALU_DEP_2)
	v_fma_f64 v[30:31], v[92:93], s[18:19], v[30:31]
	v_add_f64 v[28:29], v[32:33], v[132:133]
	v_add_f64 v[32:33], v[132:133], -v[32:33]
	v_add_f64 v[132:133], v[150:151], -v[158:159]
	s_delay_alu instid0(VALU_DEP_4) | instskip(SKIP_4) | instid1(VALU_DEP_3)
	v_add_f64 v[26:27], v[126:127], -v[30:31]
	v_add_f64 v[30:31], v[30:31], v[126:127]
	v_add_f64 v[126:127], v[134:135], -v[146:147]
	v_add_f64 v[134:135], v[34:35], -v[38:39]
	v_mul_f64 v[34:35], v[94:95], s[14:15]
	v_mul_f64 v[94:95], v[126:127], s[20:21]
	;; [unrolled: 1-line block ×3, first 2 shown]
	s_delay_alu instid0(VALU_DEP_3) | instskip(SKIP_1) | instid1(VALU_DEP_4)
	v_fma_f64 v[34:35], v[144:145], s[26:27], -v[34:35]
	v_fma_f64 v[0:1], v[134:135], s[26:27], -v[0:1]
	;; [unrolled: 1-line block ×3, first 2 shown]
	s_delay_alu instid0(VALU_DEP_4) | instskip(NEXT) | instid1(VALU_DEP_4)
	v_fma_f64 v[38:39], v[46:47], s[22:23], -v[126:127]
	v_fma_f64 v[40:41], v[92:93], s[18:19], v[34:35]
	s_delay_alu instid0(VALU_DEP_4) | instskip(SKIP_3) | instid1(VALU_DEP_2)
	v_fma_f64 v[0:1], v[96:97], s[18:19], v[0:1]
	v_fma_f64 v[44:45], v[44:45], s[10:11], v[94:95]
	v_add_f64 v[42:43], v[36:37], v[102:103]
	v_add_f64 v[46:47], v[38:39], v[124:125]
	;; [unrolled: 1-line block ×3, first 2 shown]
	v_add_f64 v[38:39], v[42:43], -v[40:41]
	v_fma_f64 v[42:43], v[144:145], s[24:25], v[100:101]
	s_delay_alu instid0(VALU_DEP_4)
	v_add_f64 v[36:37], v[46:47], -v[0:1]
	v_add_f64 v[40:41], v[0:1], v[46:47]
	v_fma_f64 v[0:1], v[134:135], s[24:25], v[98:99]
	v_fma_f64 v[46:47], v[48:49], s[10:11], v[126:127]
	v_add_f64 v[100:101], v[6:7], v[14:15]
	v_add_f64 v[6:7], v[6:7], -v[14:15]
	v_add_f64 v[98:99], v[4:5], v[12:13]
	v_add_f64 v[4:5], v[4:5], -v[12:13]
	v_fma_f64 v[48:49], v[92:93], s[18:19], v[42:43]
	v_add_f64 v[92:93], v[44:45], v[102:103]
	v_add_f64 v[102:103], v[18:19], v[22:23]
	v_fma_f64 v[0:1], v[96:97], s[18:19], v[0:1]
	v_add_f64 v[94:95], v[46:47], v[124:125]
	v_add_f64 v[124:125], v[100:101], v[98:99]
	v_add_f64 v[42:43], v[48:49], v[92:93]
	v_add_f64 v[46:47], v[92:93], -v[48:49]
	v_add_f64 v[92:93], v[8:9], v[16:17]
	v_add_f64 v[8:9], v[8:9], -v[16:17]
	v_add_f64 v[16:17], v[24:25], -v[20:21]
	;; [unrolled: 1-line block ×3, first 2 shown]
	v_add_f64 v[48:49], v[0:1], v[94:95]
	v_add_f64 v[0:1], v[2:3], v[10:11]
	;; [unrolled: 1-line block ×3, first 2 shown]
	v_add_f64 v[2:3], v[2:3], -v[10:11]
	v_add_f64 v[10:11], v[22:23], -v[18:19]
	ds_store_b128 v70, v[240:243]
	ds_store_b128 v70, v[236:239] offset:896
	ds_store_b128 v70, v[66:69] offset:2304
	;; [unrolled: 1-line block ×13, first 2 shown]
	v_add_f64 v[22:23], v[98:99], -v[102:103]
	v_add_f64 v[24:25], v[16:17], v[8:9]
	v_add_f64 v[26:27], v[16:17], -v[8:9]
	v_add_f64 v[124:125], v[102:103], v[124:125]
	v_add_f64 v[96:97], v[92:93], v[0:1]
	v_add_f64 v[12:13], v[92:93], -v[0:1]
	v_add_f64 v[8:9], v[8:9], -v[2:3]
	;; [unrolled: 1-line block ×8, first 2 shown]
	v_add_f64 v[2:3], v[24:25], v[2:3]
	v_add_f64 v[24:25], v[10:11], v[6:7]
	v_add_f64 v[6:7], v[6:7], -v[4:5]
	v_add_f64 v[10:11], v[4:5], -v[10:11]
	v_add_f64 v[96:97], v[94:95], v[96:97]
	v_add_f64 v[246:247], v[234:235], v[124:125]
	v_mul_f64 v[0:1], v[0:1], s[20:21]
	v_add_f64 v[24:25], v[24:25], v[4:5]
	v_mul_f64 v[4:5], v[26:27], s[16:17]
	v_mul_f64 v[26:27], v[8:9], s[14:15]
	v_add_f64 v[244:245], v[232:233], v[96:97]
	s_delay_alu instid0(VALU_DEP_3) | instskip(SKIP_1) | instid1(VALU_DEP_4)
	v_fma_f64 v[8:9], v[8:9], s[14:15], -v[4:5]
	v_fma_f64 v[4:5], v[16:17], s[24:25], v[4:5]
	v_fma_f64 v[16:17], v[16:17], s[26:27], -v[26:27]
	v_mul_f64 v[26:27], v[28:29], s[16:17]
	v_mul_f64 v[28:29], v[6:7], s[14:15]
	s_delay_alu instid0(VALU_DEP_4) | instskip(NEXT) | instid1(VALU_DEP_4)
	v_fma_f64 v[4:5], v[2:3], s[18:19], v[4:5]
	v_fma_f64 v[16:17], v[2:3], s[18:19], v[16:17]
	s_delay_alu instid0(VALU_DEP_4)
	v_fma_f64 v[30:31], v[6:7], s[14:15], -v[26:27]
	v_fma_f64 v[6:7], v[10:11], s[24:25], v[26:27]
	v_mul_f64 v[26:27], v[14:15], s[10:11]
	v_fma_f64 v[10:11], v[10:11], s[26:27], -v[28:29]
	v_fma_f64 v[14:15], v[14:15], s[10:11], v[0:1]
	v_fma_f64 v[0:1], v[12:13], s[22:23], -v[0:1]
	v_fma_f64 v[6:7], v[24:25], s[18:19], v[6:7]
	v_fma_f64 v[26:27], v[12:13], s[12:13], -v[26:27]
	v_mul_f64 v[12:13], v[22:23], s[20:21]
	v_mul_f64 v[22:23], v[20:21], s[10:11]
	s_delay_alu instid0(VALU_DEP_2)
	v_fma_f64 v[28:29], v[20:21], s[10:11], v[12:13]
	v_fma_f64 v[20:21], v[2:3], s[18:19], v[8:9]
	;; [unrolled: 1-line block ×5, first 2 shown]
	v_fma_f64 v[22:23], v[18:19], s[12:13], -v[22:23]
	v_fma_f64 v[18:19], v[18:19], s[22:23], -v[12:13]
	s_delay_alu instid0(VALU_DEP_3) | instskip(SKIP_3) | instid1(VALU_DEP_4)
	v_add_f64 v[12:13], v[0:1], v[24:25]
	v_fma_f64 v[0:1], v[124:125], s[0:1], v[246:247]
	v_add_f64 v[10:11], v[26:27], v[24:25]
	v_add_f64 v[14:15], v[14:15], v[24:25]
	v_add_f64 v[132:133], v[12:13], -v[8:9]
	s_delay_alu instid0(VALU_DEP_4)
	v_add_f64 v[24:25], v[22:23], v[0:1]
	v_add_f64 v[22:23], v[18:19], v[0:1]
	;; [unrolled: 1-line block ×4, first 2 shown]
	v_add_f64 v[144:145], v[14:15], -v[6:7]
	v_add_f64 v[126:127], v[24:25], -v[20:21]
	v_add_f64 v[134:135], v[16:17], v[22:23]
	v_add_f64 v[146:147], v[4:5], v[18:19]
	s_and_saveexec_b32 s0, vcc_lo
	s_cbranch_execz .LBB0_5
; %bb.4:
	v_add_f64 v[20:21], v[20:21], v[24:25]
	v_add_f64 v[16:17], v[22:23], -v[16:17]
	v_add_f64 v[24:25], v[18:19], -v[4:5]
	v_add_f64 v[22:23], v[6:7], v[14:15]
	v_add_f64 v[14:15], v[8:9], v[12:13]
	v_add_f64 v[18:19], v[10:11], -v[2:3]
	ds_store_b128 v70, v[124:127] offset:11008
	ds_store_b128 v70, v[132:135] offset:13312
	;; [unrolled: 1-line block ×7, first 2 shown]
.LBB0_5:
	s_or_b32 exec_lo, exec_lo, s0
	s_waitcnt lgkmcnt(0)
	s_waitcnt_vscnt null, 0x0
	s_barrier
	buffer_gl0_inv
	scratch_load_b32 v0, off, off offset:312 ; 4-byte Folded Reload
	s_add_u32 s8, s8, 0x3f00
	s_addc_u32 s9, s9, 0
	s_waitcnt vmcnt(0)
	global_load_b128 v[2:5], v0, s[8:9]
	scratch_load_b32 v0, off, off offset:308 ; 4-byte Folded Reload
	s_waitcnt vmcnt(0)
	global_load_b128 v[6:9], v0, s[8:9]
	ds_load_b128 v[10:13], v70 offset:14336
	ds_load_b128 v[14:17], v70 offset:15232
	s_waitcnt lgkmcnt(1)
	v_mul_f64 v[0:1], v[12:13], v[4:5]
	v_mul_f64 v[4:5], v[10:11], v[4:5]
	s_delay_alu instid0(VALU_DEP_2) | instskip(NEXT) | instid1(VALU_DEP_2)
	v_fma_f64 v[10:11], v[10:11], v[2:3], -v[0:1]
	v_fma_f64 v[12:13], v[12:13], v[2:3], v[4:5]
	ds_load_b128 v[2:5], v70 offset:7168
	ds_load_b128 v[18:21], v70 offset:8064
	s_waitcnt vmcnt(0) lgkmcnt(1)
	v_mul_f64 v[0:1], v[4:5], v[8:9]
	v_mul_f64 v[8:9], v[2:3], v[8:9]
	s_delay_alu instid0(VALU_DEP_2)
	v_fma_f64 v[2:3], v[2:3], v[6:7], -v[0:1]
	scratch_load_b32 v0, off, off           ; 4-byte Folded Reload
	v_fma_f64 v[4:5], v[4:5], v[6:7], v[8:9]
	s_waitcnt vmcnt(0)
	v_lshlrev_b32_e32 v42, 4, v0
	s_clause 0x1
	global_load_b128 v[6:9], v42, s[8:9]
	global_load_b128 v[22:25], v42, s[8:9] offset:896
	ds_load_b128 v[26:29], v70
	ds_load_b128 v[30:33], v70 offset:896
	v_add_co_u32 v71, s0, s8, v42
	s_delay_alu instid0(VALU_DEP_1) | instskip(SKIP_3) | instid1(VALU_DEP_2)
	v_add_co_ci_u32_e64 v96, null, s9, 0, s0
	s_waitcnt vmcnt(1) lgkmcnt(1)
	v_mul_f64 v[0:1], v[28:29], v[8:9]
	v_mul_f64 v[8:9], v[26:27], v[8:9]
	v_fma_f64 v[26:27], v[26:27], v[6:7], -v[0:1]
	s_delay_alu instid0(VALU_DEP_2) | instskip(SKIP_3) | instid1(VALU_DEP_2)
	v_fma_f64 v[28:29], v[28:29], v[6:7], v[8:9]
	s_waitcnt vmcnt(0) lgkmcnt(0)
	v_mul_f64 v[0:1], v[32:33], v[24:25]
	v_mul_f64 v[8:9], v[30:31], v[24:25]
	v_fma_f64 v[6:7], v[30:31], v[22:23], -v[0:1]
	s_delay_alu instid0(VALU_DEP_2)
	v_fma_f64 v[8:9], v[32:33], v[22:23], v[8:9]
	s_clause 0x1
	global_load_b128 v[22:25], v42, s[8:9] offset:1792
	global_load_b128 v[30:33], v42, s[8:9] offset:2688
	ds_load_b128 v[34:37], v70 offset:1792
	ds_load_b128 v[38:41], v70 offset:2688
	s_waitcnt vmcnt(1) lgkmcnt(1)
	v_mul_f64 v[0:1], v[36:37], v[24:25]
	v_mul_f64 v[24:25], v[34:35], v[24:25]
	s_delay_alu instid0(VALU_DEP_2) | instskip(NEXT) | instid1(VALU_DEP_2)
	v_fma_f64 v[34:35], v[34:35], v[22:23], -v[0:1]
	v_fma_f64 v[36:37], v[36:37], v[22:23], v[24:25]
	s_waitcnt vmcnt(0) lgkmcnt(0)
	v_mul_f64 v[0:1], v[40:41], v[32:33]
	v_mul_f64 v[24:25], v[38:39], v[32:33]
	s_delay_alu instid0(VALU_DEP_2) | instskip(NEXT) | instid1(VALU_DEP_2)
	v_fma_f64 v[22:23], v[38:39], v[30:31], -v[0:1]
	v_fma_f64 v[24:25], v[40:41], v[30:31], v[24:25]
	global_load_b128 v[30:33], v42, s[8:9] offset:3584
	ds_load_b128 v[38:41], v70 offset:3584
	ds_load_b128 v[42:45], v70 offset:4480
	v_add_co_u32 v0, s0, 0x1000, v71
	s_delay_alu instid0(VALU_DEP_1) | instskip(SKIP_1) | instid1(VALU_DEP_1)
	v_add_co_ci_u32_e64 v1, s0, 0, v96, s0
	v_add_co_u32 v92, s0, 0x2000, v71
	v_add_co_ci_u32_e64 v93, s0, 0, v96, s0
	global_load_b128 v[46:49], v[0:1], off offset:384
	s_mov_b32 s9, 0x3febb67a
	s_waitcnt vmcnt(1) lgkmcnt(1)
	v_mul_f64 v[50:51], v[40:41], v[32:33]
	v_mul_f64 v[32:33], v[38:39], v[32:33]
	s_delay_alu instid0(VALU_DEP_2) | instskip(NEXT) | instid1(VALU_DEP_2)
	v_fma_f64 v[38:39], v[38:39], v[30:31], -v[50:51]
	v_fma_f64 v[40:41], v[40:41], v[30:31], v[32:33]
	global_load_b128 v[30:33], v[92:93], off offset:768
	ds_load_b128 v[50:53], v70 offset:8960
	ds_load_b128 v[54:57], v70 offset:9856
	global_load_b128 v[58:61], v[0:1], off offset:3968
	s_waitcnt vmcnt(1) lgkmcnt(1)
	v_mul_f64 v[62:63], v[52:53], v[32:33]
	v_mul_f64 v[32:33], v[50:51], v[32:33]
	s_delay_alu instid0(VALU_DEP_2) | instskip(NEXT) | instid1(VALU_DEP_2)
	v_fma_f64 v[50:51], v[50:51], v[30:31], -v[62:63]
	v_fma_f64 v[52:53], v[52:53], v[30:31], v[32:33]
	s_clause 0x1
	global_load_b128 v[30:33], v[92:93], off offset:1664
	global_load_b128 v[62:65], v[92:93], off offset:2560
	s_waitcnt vmcnt(1) lgkmcnt(0)
	v_mul_f64 v[66:67], v[56:57], v[32:33]
	v_mul_f64 v[32:33], v[54:55], v[32:33]
	s_delay_alu instid0(VALU_DEP_2) | instskip(NEXT) | instid1(VALU_DEP_2)
	v_fma_f64 v[54:55], v[54:55], v[30:31], -v[66:67]
	v_fma_f64 v[56:57], v[56:57], v[30:31], v[32:33]
	ds_load_b128 v[30:33], v70 offset:10752
	ds_load_b128 v[66:69], v70 offset:11648
	s_waitcnt vmcnt(0) lgkmcnt(1)
	v_mul_f64 v[94:95], v[32:33], v[64:65]
	v_mul_f64 v[64:65], v[30:31], v[64:65]
	s_delay_alu instid0(VALU_DEP_2) | instskip(SKIP_1) | instid1(VALU_DEP_1)
	v_fma_f64 v[30:31], v[30:31], v[62:63], -v[94:95]
	v_add_co_u32 v94, s0, 0x3000, v71
	v_add_co_ci_u32_e64 v95, s0, 0, v96, s0
	s_delay_alu instid0(VALU_DEP_4)
	v_fma_f64 v[32:33], v[32:33], v[62:63], v[64:65]
	s_clause 0x1
	global_load_b128 v[62:65], v[92:93], off offset:3456
	global_load_b128 v[244:247], v[94:95], off offset:256
	s_mov_b32 s0, 0xe8584caa
	s_mov_b32 s1, 0xbfebb67a
	;; [unrolled: 1-line block ×3, first 2 shown]
	s_waitcnt vmcnt(1) lgkmcnt(0)
	v_mul_f64 v[92:93], v[68:69], v[64:65]
	v_mul_f64 v[96:97], v[66:67], v[64:65]
	s_delay_alu instid0(VALU_DEP_2) | instskip(NEXT) | instid1(VALU_DEP_2)
	v_fma_f64 v[64:65], v[66:67], v[62:63], -v[92:93]
	v_fma_f64 v[66:67], v[68:69], v[62:63], v[96:97]
	v_mul_f64 v[62:63], v[44:45], v[48:49]
	v_mul_f64 v[48:49], v[42:43], v[48:49]
	s_delay_alu instid0(VALU_DEP_2) | instskip(NEXT) | instid1(VALU_DEP_2)
	v_fma_f64 v[42:43], v[42:43], v[46:47], -v[62:63]
	v_fma_f64 v[44:45], v[44:45], v[46:47], v[48:49]
	ds_load_b128 v[46:49], v70 offset:12544
	ds_load_b128 v[248:251], v70 offset:13440
	s_waitcnt vmcnt(0) lgkmcnt(1)
	v_mul_f64 v[62:63], v[48:49], v[246:247]
	v_mul_f64 v[68:69], v[46:47], v[246:247]
	s_delay_alu instid0(VALU_DEP_2) | instskip(NEXT) | instid1(VALU_DEP_2)
	v_fma_f64 v[46:47], v[46:47], v[244:245], -v[62:63]
	v_fma_f64 v[48:49], v[48:49], v[244:245], v[68:69]
	s_clause 0x1
	global_load_b128 v[244:247], v[0:1], off offset:1280
	global_load_b128 v[252:255], v[0:1], off offset:2176
	ds_load_b128 v[232:235], v70 offset:5376
	ds_load_b128 v[236:239], v70 offset:6272
	s_waitcnt vmcnt(1) lgkmcnt(1)
	v_mul_f64 v[0:1], v[234:235], v[246:247]
	v_mul_f64 v[62:63], v[232:233], v[246:247]
	s_delay_alu instid0(VALU_DEP_2) | instskip(NEXT) | instid1(VALU_DEP_2)
	v_fma_f64 v[232:233], v[232:233], v[244:245], -v[0:1]
	v_fma_f64 v[234:235], v[234:235], v[244:245], v[62:63]
	s_clause 0x1
	global_load_b128 v[244:247], v[94:95], off offset:1152
	global_load_b128 v[240:243], v[94:95], off offset:2944
	s_waitcnt vmcnt(1)
	v_mul_f64 v[0:1], v[250:251], v[246:247]
	v_mul_f64 v[62:63], v[248:249], v[246:247]
	s_delay_alu instid0(VALU_DEP_2) | instskip(SKIP_2) | instid1(VALU_DEP_3)
	v_fma_f64 v[246:247], v[248:249], v[244:245], -v[0:1]
	s_waitcnt lgkmcnt(0)
	v_mul_f64 v[0:1], v[238:239], v[254:255]
	v_fma_f64 v[248:249], v[250:251], v[244:245], v[62:63]
	v_mul_f64 v[62:63], v[236:237], v[254:255]
	s_delay_alu instid0(VALU_DEP_3) | instskip(SKIP_2) | instid1(VALU_DEP_4)
	v_fma_f64 v[236:237], v[236:237], v[252:253], -v[0:1]
	v_mul_f64 v[0:1], v[20:21], v[60:61]
	v_mul_f64 v[60:61], v[18:19], v[60:61]
	v_fma_f64 v[238:239], v[238:239], v[252:253], v[62:63]
	s_delay_alu instid0(VALU_DEP_3) | instskip(NEXT) | instid1(VALU_DEP_3)
	v_fma_f64 v[18:19], v[18:19], v[58:59], -v[0:1]
	v_fma_f64 v[20:21], v[20:21], v[58:59], v[60:61]
	s_waitcnt vmcnt(0)
	v_mul_f64 v[0:1], v[16:17], v[242:243]
	v_mul_f64 v[58:59], v[14:15], v[242:243]
	s_delay_alu instid0(VALU_DEP_2) | instskip(NEXT) | instid1(VALU_DEP_2)
	v_fma_f64 v[14:15], v[14:15], v[240:241], -v[0:1]
	v_fma_f64 v[16:17], v[16:17], v[240:241], v[58:59]
	ds_store_b128 v70, v[26:29]
	ds_store_b128 v70, v[6:9] offset:896
	ds_store_b128 v70, v[34:37] offset:1792
	;; [unrolled: 1-line block ×17, first 2 shown]
	s_waitcnt lgkmcnt(0)
	s_barrier
	buffer_gl0_inv
	ds_load_b128 v[2:5], v70 offset:8064
	ds_load_b128 v[6:9], v70
	ds_load_b128 v[10:13], v70 offset:896
	ds_load_b128 v[14:17], v70 offset:7168
	ds_load_b128 v[18:21], v70 offset:8960
	ds_load_b128 v[22:25], v70 offset:9856
	ds_load_b128 v[26:29], v70 offset:1792
	ds_load_b128 v[30:33], v70 offset:2688
	ds_load_b128 v[34:37], v70 offset:10752
	ds_load_b128 v[38:41], v70 offset:11648
	ds_load_b128 v[42:45], v70 offset:3584
	ds_load_b128 v[46:49], v70 offset:4480
	ds_load_b128 v[50:53], v70 offset:12544
	ds_load_b128 v[54:57], v70 offset:13440
	ds_load_b128 v[58:61], v70 offset:5376
	ds_load_b128 v[62:65], v70 offset:6272
	ds_load_b128 v[66:69], v70 offset:14336
	ds_load_b128 v[232:235], v70 offset:15232
	s_waitcnt lgkmcnt(0)
	s_barrier
	buffer_gl0_inv
	scratch_load_b32 v0, off, off offset:348 ; 4-byte Folded Reload
	v_add_f64 v[2:3], v[6:7], -v[2:3]
	v_add_f64 v[4:5], v[8:9], -v[4:5]
	s_delay_alu instid0(VALU_DEP_2) | instskip(NEXT) | instid1(VALU_DEP_2)
	v_fma_f64 v[6:7], v[6:7], 2.0, -v[2:3]
	v_fma_f64 v[8:9], v[8:9], 2.0, -v[4:5]
	s_waitcnt vmcnt(0)
	ds_store_b128 v0, v[2:5] offset:16
	ds_store_b128 v0, v[6:9]
	scratch_load_b32 v0, off, off offset:344 ; 4-byte Folded Reload
	v_add_f64 v[2:3], v[10:11], -v[18:19]
	v_add_f64 v[4:5], v[12:13], -v[20:21]
	s_delay_alu instid0(VALU_DEP_2) | instskip(NEXT) | instid1(VALU_DEP_2)
	v_fma_f64 v[6:7], v[10:11], 2.0, -v[2:3]
	v_fma_f64 v[8:9], v[12:13], 2.0, -v[4:5]
	s_waitcnt vmcnt(0)
	ds_store_b128 v0, v[6:9]
	ds_store_b128 v0, v[2:5] offset:16
	scratch_load_b32 v0, off, off offset:340 ; 4-byte Folded Reload
	v_add_f64 v[2:3], v[26:27], -v[22:23]
	v_add_f64 v[4:5], v[28:29], -v[24:25]
	s_delay_alu instid0(VALU_DEP_2) | instskip(NEXT) | instid1(VALU_DEP_2)
	v_fma_f64 v[6:7], v[26:27], 2.0, -v[2:3]
	v_fma_f64 v[8:9], v[28:29], 2.0, -v[4:5]
	s_waitcnt vmcnt(0)
	ds_store_b128 v0, v[6:9]
	ds_store_b128 v0, v[2:5] offset:16
	;; [unrolled: 9-line block ×8, first 2 shown]
	s_waitcnt lgkmcnt(0)
	s_barrier
	buffer_gl0_inv
	ds_load_b128 v[2:5], v70 offset:8064
	ds_load_b128 v[6:9], v70 offset:7168
	s_waitcnt lgkmcnt(1)
	v_mul_f64 v[0:1], v[74:75], v[4:5]
	s_delay_alu instid0(VALU_DEP_1) | instskip(SKIP_1) | instid1(VALU_DEP_1)
	v_fma_f64 v[0:1], v[72:73], v[2:3], v[0:1]
	v_mul_f64 v[2:3], v[74:75], v[2:3]
	v_fma_f64 v[16:17], v[72:73], v[4:5], -v[2:3]
	ds_load_b128 v[2:5], v70 offset:8960
	ds_load_b128 v[10:13], v70 offset:9856
	s_waitcnt lgkmcnt(1)
	v_mul_f64 v[14:15], v[74:75], v[4:5]
	s_delay_alu instid0(VALU_DEP_1) | instskip(SKIP_1) | instid1(VALU_DEP_1)
	v_fma_f64 v[42:43], v[72:73], v[2:3], v[14:15]
	v_mul_f64 v[2:3], v[74:75], v[2:3]
	v_fma_f64 v[44:45], v[72:73], v[4:5], -v[2:3]
	s_waitcnt lgkmcnt(0)
	v_mul_f64 v[2:3], v[74:75], v[12:13]
	s_delay_alu instid0(VALU_DEP_1) | instskip(SKIP_1) | instid1(VALU_DEP_1)
	v_fma_f64 v[46:47], v[72:73], v[10:11], v[2:3]
	v_mul_f64 v[2:3], v[74:75], v[10:11]
	v_fma_f64 v[48:49], v[72:73], v[12:13], -v[2:3]
	ds_load_b128 v[2:5], v70 offset:10752
	ds_load_b128 v[10:13], v70 offset:11648
	s_waitcnt lgkmcnt(1)
	v_mul_f64 v[14:15], v[74:75], v[4:5]
	s_delay_alu instid0(VALU_DEP_1) | instskip(SKIP_1) | instid1(VALU_DEP_1)
	v_fma_f64 v[50:51], v[72:73], v[2:3], v[14:15]
	v_mul_f64 v[2:3], v[74:75], v[2:3]
	v_fma_f64 v[52:53], v[72:73], v[4:5], -v[2:3]
	;; [unrolled: 14-line block ×4, first 2 shown]
	s_waitcnt lgkmcnt(0)
	v_mul_f64 v[2:3], v[74:75], v[12:13]
	s_delay_alu instid0(VALU_DEP_1) | instskip(SKIP_1) | instid1(VALU_DEP_1)
	v_fma_f64 v[92:93], v[72:73], v[10:11], v[2:3]
	v_mul_f64 v[2:3], v[74:75], v[10:11]
	v_fma_f64 v[71:72], v[72:73], v[12:13], -v[2:3]
	ds_load_b128 v[2:5], v70
	ds_load_b128 v[10:13], v70 offset:896
	ds_load_b128 v[18:21], v70 offset:1792
	ds_load_b128 v[22:25], v70 offset:2688
	ds_load_b128 v[26:29], v70 offset:3584
	ds_load_b128 v[30:33], v70 offset:4480
	ds_load_b128 v[34:37], v70 offset:5376
	ds_load_b128 v[38:41], v70 offset:6272
	s_waitcnt lgkmcnt(0)
	s_barrier
	buffer_gl0_inv
	v_add_f64 v[14:15], v[2:3], -v[0:1]
	scratch_load_b32 v0, off, off offset:376 ; 4-byte Folded Reload
	v_add_f64 v[16:17], v[4:5], -v[16:17]
	v_fma_f64 v[2:3], v[2:3], 2.0, -v[14:15]
	s_delay_alu instid0(VALU_DEP_2)
	v_fma_f64 v[4:5], v[4:5], 2.0, -v[16:17]
	s_waitcnt vmcnt(0)
	ds_store_b128 v0, v[14:17] offset:32
	ds_store_b128 v0, v[2:5]
	scratch_load_b32 v0, off, off offset:384 ; 4-byte Folded Reload
	v_add_f64 v[2:3], v[10:11], -v[42:43]
	v_add_f64 v[4:5], v[12:13], -v[44:45]
	s_delay_alu instid0(VALU_DEP_2) | instskip(NEXT) | instid1(VALU_DEP_2)
	v_fma_f64 v[10:11], v[10:11], 2.0, -v[2:3]
	v_fma_f64 v[12:13], v[12:13], 2.0, -v[4:5]
	s_waitcnt vmcnt(0)
	ds_store_b128 v0, v[10:13]
	ds_store_b128 v0, v[2:5] offset:32
	scratch_load_b32 v0, off, off offset:380 ; 4-byte Folded Reload
	v_add_f64 v[2:3], v[18:19], -v[46:47]
	v_add_f64 v[4:5], v[20:21], -v[48:49]
	s_delay_alu instid0(VALU_DEP_2) | instskip(NEXT) | instid1(VALU_DEP_2)
	v_fma_f64 v[10:11], v[18:19], 2.0, -v[2:3]
	v_fma_f64 v[12:13], v[20:21], 2.0, -v[4:5]
	s_waitcnt vmcnt(0)
	ds_store_b128 v0, v[10:13]
	ds_store_b128 v0, v[2:5] offset:32
	scratch_load_b32 v0, off, off offset:372 ; 4-byte Folded Reload
	v_add_f64 v[2:3], v[22:23], -v[50:51]
	v_add_f64 v[4:5], v[24:25], -v[52:53]
	s_delay_alu instid0(VALU_DEP_2) | instskip(NEXT) | instid1(VALU_DEP_2)
	v_fma_f64 v[10:11], v[22:23], 2.0, -v[2:3]
	v_fma_f64 v[12:13], v[24:25], 2.0, -v[4:5]
	s_waitcnt vmcnt(0)
	ds_store_b128 v0, v[10:13]
	ds_store_b128 v0, v[2:5] offset:32
	scratch_load_b32 v0, off, off offset:368 ; 4-byte Folded Reload
	v_add_f64 v[2:3], v[26:27], -v[54:55]
	v_add_f64 v[4:5], v[28:29], -v[56:57]
	s_delay_alu instid0(VALU_DEP_2) | instskip(NEXT) | instid1(VALU_DEP_2)
	v_fma_f64 v[10:11], v[26:27], 2.0, -v[2:3]
	v_fma_f64 v[12:13], v[28:29], 2.0, -v[4:5]
	s_waitcnt vmcnt(0)
	ds_store_b128 v0, v[10:13]
	ds_store_b128 v0, v[2:5] offset:32
	scratch_load_b32 v0, off, off offset:364 ; 4-byte Folded Reload
	v_add_f64 v[2:3], v[30:31], -v[58:59]
	v_add_f64 v[4:5], v[32:33], -v[60:61]
	s_delay_alu instid0(VALU_DEP_2) | instskip(NEXT) | instid1(VALU_DEP_2)
	v_fma_f64 v[10:11], v[30:31], 2.0, -v[2:3]
	v_fma_f64 v[12:13], v[32:33], 2.0, -v[4:5]
	s_waitcnt vmcnt(0)
	ds_store_b128 v0, v[10:13]
	ds_store_b128 v0, v[2:5] offset:32
	scratch_load_b32 v0, off, off offset:360 ; 4-byte Folded Reload
	v_add_f64 v[2:3], v[34:35], -v[62:63]
	v_add_f64 v[4:5], v[36:37], -v[64:65]
	s_delay_alu instid0(VALU_DEP_2) | instskip(NEXT) | instid1(VALU_DEP_2)
	v_fma_f64 v[10:11], v[34:35], 2.0, -v[2:3]
	v_fma_f64 v[12:13], v[36:37], 2.0, -v[4:5]
	s_waitcnt vmcnt(0)
	ds_store_b128 v0, v[10:13]
	ds_store_b128 v0, v[2:5] offset:32
	scratch_load_b32 v0, off, off offset:356 ; 4-byte Folded Reload
	v_add_f64 v[2:3], v[38:39], -v[66:67]
	v_add_f64 v[4:5], v[40:41], -v[68:69]
	s_delay_alu instid0(VALU_DEP_2) | instskip(NEXT) | instid1(VALU_DEP_2)
	v_fma_f64 v[10:11], v[38:39], 2.0, -v[2:3]
	v_fma_f64 v[12:13], v[40:41], 2.0, -v[4:5]
	s_waitcnt vmcnt(0)
	ds_store_b128 v0, v[10:13]
	ds_store_b128 v0, v[2:5] offset:32
	scratch_load_b32 v0, off, off offset:352 ; 4-byte Folded Reload
	v_add_f64 v[2:3], v[6:7], -v[92:93]
	v_add_f64 v[4:5], v[8:9], -v[71:72]
	s_delay_alu instid0(VALU_DEP_2) | instskip(NEXT) | instid1(VALU_DEP_2)
	v_fma_f64 v[6:7], v[6:7], 2.0, -v[2:3]
	v_fma_f64 v[8:9], v[8:9], 2.0, -v[4:5]
	s_waitcnt vmcnt(0)
	ds_store_b128 v0, v[6:9]
	ds_store_b128 v0, v[2:5] offset:32
	s_waitcnt lgkmcnt(0)
	s_barrier
	buffer_gl0_inv
	ds_load_b128 v[2:5], v70 offset:8064
	ds_load_b128 v[6:9], v70 offset:7168
	s_waitcnt lgkmcnt(1)
	v_mul_f64 v[0:1], v[78:79], v[4:5]
	s_delay_alu instid0(VALU_DEP_1) | instskip(SKIP_1) | instid1(VALU_DEP_1)
	v_fma_f64 v[0:1], v[76:77], v[2:3], v[0:1]
	v_mul_f64 v[2:3], v[78:79], v[2:3]
	v_fma_f64 v[16:17], v[76:77], v[4:5], -v[2:3]
	ds_load_b128 v[2:5], v70 offset:8960
	ds_load_b128 v[10:13], v70 offset:9856
	s_waitcnt lgkmcnt(1)
	v_mul_f64 v[14:15], v[78:79], v[4:5]
	s_delay_alu instid0(VALU_DEP_1) | instskip(SKIP_1) | instid1(VALU_DEP_1)
	v_fma_f64 v[42:43], v[76:77], v[2:3], v[14:15]
	v_mul_f64 v[2:3], v[78:79], v[2:3]
	v_fma_f64 v[44:45], v[76:77], v[4:5], -v[2:3]
	s_waitcnt lgkmcnt(0)
	v_mul_f64 v[2:3], v[78:79], v[12:13]
	s_delay_alu instid0(VALU_DEP_1) | instskip(SKIP_1) | instid1(VALU_DEP_1)
	v_fma_f64 v[46:47], v[76:77], v[10:11], v[2:3]
	v_mul_f64 v[2:3], v[78:79], v[10:11]
	v_fma_f64 v[48:49], v[76:77], v[12:13], -v[2:3]
	ds_load_b128 v[2:5], v70 offset:10752
	ds_load_b128 v[10:13], v70 offset:11648
	s_waitcnt lgkmcnt(1)
	v_mul_f64 v[14:15], v[78:79], v[4:5]
	s_delay_alu instid0(VALU_DEP_1) | instskip(SKIP_1) | instid1(VALU_DEP_1)
	v_fma_f64 v[50:51], v[76:77], v[2:3], v[14:15]
	v_mul_f64 v[2:3], v[78:79], v[2:3]
	v_fma_f64 v[52:53], v[76:77], v[4:5], -v[2:3]
	;; [unrolled: 14-line block ×4, first 2 shown]
	s_waitcnt lgkmcnt(0)
	v_mul_f64 v[2:3], v[78:79], v[12:13]
	s_delay_alu instid0(VALU_DEP_1) | instskip(SKIP_1) | instid1(VALU_DEP_1)
	v_fma_f64 v[71:72], v[76:77], v[10:11], v[2:3]
	v_mul_f64 v[2:3], v[78:79], v[10:11]
	v_fma_f64 v[73:74], v[76:77], v[12:13], -v[2:3]
	ds_load_b128 v[2:5], v70
	ds_load_b128 v[10:13], v70 offset:896
	ds_load_b128 v[18:21], v70 offset:1792
	;; [unrolled: 1-line block ×7, first 2 shown]
	s_waitcnt lgkmcnt(0)
	s_barrier
	buffer_gl0_inv
	v_add_f64 v[14:15], v[2:3], -v[0:1]
	scratch_load_b32 v0, off, off offset:468 ; 4-byte Folded Reload
	v_add_f64 v[16:17], v[4:5], -v[16:17]
	v_fma_f64 v[2:3], v[2:3], 2.0, -v[14:15]
	s_delay_alu instid0(VALU_DEP_2)
	v_fma_f64 v[4:5], v[4:5], 2.0, -v[16:17]
	s_waitcnt vmcnt(0)
	ds_store_b128 v0, v[14:17] offset:64
	ds_store_b128 v0, v[2:5]
	scratch_load_b32 v0, off, off offset:476 ; 4-byte Folded Reload
	v_add_f64 v[2:3], v[10:11], -v[42:43]
	v_add_f64 v[4:5], v[12:13], -v[44:45]
	s_delay_alu instid0(VALU_DEP_2) | instskip(NEXT) | instid1(VALU_DEP_2)
	v_fma_f64 v[10:11], v[10:11], 2.0, -v[2:3]
	v_fma_f64 v[12:13], v[12:13], 2.0, -v[4:5]
	s_waitcnt vmcnt(0)
	ds_store_b128 v0, v[10:13]
	ds_store_b128 v0, v[2:5] offset:64
	scratch_load_b32 v0, off, off offset:472 ; 4-byte Folded Reload
	v_add_f64 v[2:3], v[18:19], -v[46:47]
	v_add_f64 v[4:5], v[20:21], -v[48:49]
	s_delay_alu instid0(VALU_DEP_2) | instskip(NEXT) | instid1(VALU_DEP_2)
	v_fma_f64 v[10:11], v[18:19], 2.0, -v[2:3]
	v_fma_f64 v[12:13], v[20:21], 2.0, -v[4:5]
	s_waitcnt vmcnt(0)
	ds_store_b128 v0, v[10:13]
	ds_store_b128 v0, v[2:5] offset:64
	;; [unrolled: 9-line block ×8, first 2 shown]
	s_waitcnt lgkmcnt(0)
	s_barrier
	buffer_gl0_inv
	ds_load_b128 v[2:5], v70 offset:8064
	ds_load_b128 v[6:9], v70 offset:7168
	s_waitcnt lgkmcnt(1)
	v_mul_f64 v[0:1], v[82:83], v[4:5]
	s_delay_alu instid0(VALU_DEP_1) | instskip(SKIP_1) | instid1(VALU_DEP_1)
	v_fma_f64 v[0:1], v[80:81], v[2:3], v[0:1]
	v_mul_f64 v[2:3], v[82:83], v[2:3]
	v_fma_f64 v[16:17], v[80:81], v[4:5], -v[2:3]
	ds_load_b128 v[2:5], v70 offset:8960
	ds_load_b128 v[10:13], v70 offset:9856
	s_waitcnt lgkmcnt(1)
	v_mul_f64 v[14:15], v[82:83], v[4:5]
	s_delay_alu instid0(VALU_DEP_1) | instskip(SKIP_1) | instid1(VALU_DEP_1)
	v_fma_f64 v[42:43], v[80:81], v[2:3], v[14:15]
	v_mul_f64 v[2:3], v[82:83], v[2:3]
	v_fma_f64 v[44:45], v[80:81], v[4:5], -v[2:3]
	s_waitcnt lgkmcnt(0)
	v_mul_f64 v[2:3], v[82:83], v[12:13]
	s_delay_alu instid0(VALU_DEP_1) | instskip(SKIP_1) | instid1(VALU_DEP_1)
	v_fma_f64 v[46:47], v[80:81], v[10:11], v[2:3]
	v_mul_f64 v[2:3], v[82:83], v[10:11]
	v_fma_f64 v[48:49], v[80:81], v[12:13], -v[2:3]
	ds_load_b128 v[2:5], v70 offset:10752
	ds_load_b128 v[10:13], v70 offset:11648
	s_waitcnt lgkmcnt(1)
	v_mul_f64 v[14:15], v[82:83], v[4:5]
	s_delay_alu instid0(VALU_DEP_1) | instskip(SKIP_1) | instid1(VALU_DEP_1)
	v_fma_f64 v[50:51], v[80:81], v[2:3], v[14:15]
	v_mul_f64 v[2:3], v[82:83], v[2:3]
	v_fma_f64 v[52:53], v[80:81], v[4:5], -v[2:3]
	s_waitcnt lgkmcnt(0)
	v_mul_f64 v[2:3], v[82:83], v[12:13]
	s_delay_alu instid0(VALU_DEP_1) | instskip(SKIP_1) | instid1(VALU_DEP_1)
	v_fma_f64 v[54:55], v[80:81], v[10:11], v[2:3]
	v_mul_f64 v[2:3], v[82:83], v[10:11]
	v_fma_f64 v[56:57], v[80:81], v[12:13], -v[2:3]
	ds_load_b128 v[2:5], v70 offset:12544
	ds_load_b128 v[10:13], v70 offset:13440
	s_waitcnt lgkmcnt(1)
	v_mul_f64 v[14:15], v[82:83], v[4:5]
	s_delay_alu instid0(VALU_DEP_1) | instskip(SKIP_1) | instid1(VALU_DEP_1)
	v_fma_f64 v[58:59], v[80:81], v[2:3], v[14:15]
	v_mul_f64 v[2:3], v[82:83], v[2:3]
	v_fma_f64 v[60:61], v[80:81], v[4:5], -v[2:3]
	s_waitcnt lgkmcnt(0)
	v_mul_f64 v[2:3], v[82:83], v[12:13]
	s_delay_alu instid0(VALU_DEP_1) | instskip(SKIP_1) | instid1(VALU_DEP_1)
	v_fma_f64 v[62:63], v[80:81], v[10:11], v[2:3]
	v_mul_f64 v[2:3], v[82:83], v[10:11]
	v_fma_f64 v[64:65], v[80:81], v[12:13], -v[2:3]
	ds_load_b128 v[2:5], v70 offset:14336
	ds_load_b128 v[10:13], v70 offset:15232
	s_waitcnt lgkmcnt(1)
	v_mul_f64 v[14:15], v[82:83], v[4:5]
	s_delay_alu instid0(VALU_DEP_1) | instskip(SKIP_1) | instid1(VALU_DEP_1)
	v_fma_f64 v[66:67], v[80:81], v[2:3], v[14:15]
	v_mul_f64 v[2:3], v[82:83], v[2:3]
	v_fma_f64 v[68:69], v[80:81], v[4:5], -v[2:3]
	s_waitcnt lgkmcnt(0)
	v_mul_f64 v[2:3], v[82:83], v[12:13]
	s_delay_alu instid0(VALU_DEP_1) | instskip(SKIP_1) | instid1(VALU_DEP_1)
	v_fma_f64 v[71:72], v[80:81], v[10:11], v[2:3]
	v_mul_f64 v[2:3], v[82:83], v[10:11]
	v_fma_f64 v[73:74], v[80:81], v[12:13], -v[2:3]
	ds_load_b128 v[2:5], v70
	ds_load_b128 v[10:13], v70 offset:896
	ds_load_b128 v[18:21], v70 offset:1792
	;; [unrolled: 1-line block ×7, first 2 shown]
	s_waitcnt lgkmcnt(0)
	s_barrier
	buffer_gl0_inv
	v_add_f64 v[14:15], v[2:3], -v[0:1]
	scratch_load_b32 v0, off, off offset:512 ; 4-byte Folded Reload
	v_add_f64 v[16:17], v[4:5], -v[16:17]
	v_fma_f64 v[2:3], v[2:3], 2.0, -v[14:15]
	s_delay_alu instid0(VALU_DEP_2)
	v_fma_f64 v[4:5], v[4:5], 2.0, -v[16:17]
	s_waitcnt vmcnt(0)
	ds_store_b128 v0, v[14:17] offset:128
	ds_store_b128 v0, v[2:5]
	scratch_load_b32 v0, off, off offset:520 ; 4-byte Folded Reload
	v_add_f64 v[2:3], v[10:11], -v[42:43]
	v_add_f64 v[4:5], v[12:13], -v[44:45]
	s_delay_alu instid0(VALU_DEP_2) | instskip(NEXT) | instid1(VALU_DEP_2)
	v_fma_f64 v[10:11], v[10:11], 2.0, -v[2:3]
	v_fma_f64 v[12:13], v[12:13], 2.0, -v[4:5]
	s_waitcnt vmcnt(0)
	ds_store_b128 v0, v[10:13]
	ds_store_b128 v0, v[2:5] offset:128
	scratch_load_b32 v0, off, off offset:516 ; 4-byte Folded Reload
	v_add_f64 v[2:3], v[18:19], -v[46:47]
	v_add_f64 v[4:5], v[20:21], -v[48:49]
	s_delay_alu instid0(VALU_DEP_2) | instskip(NEXT) | instid1(VALU_DEP_2)
	v_fma_f64 v[10:11], v[18:19], 2.0, -v[2:3]
	v_fma_f64 v[12:13], v[20:21], 2.0, -v[4:5]
	s_waitcnt vmcnt(0)
	ds_store_b128 v0, v[10:13]
	ds_store_b128 v0, v[2:5] offset:128
	;; [unrolled: 9-line block ×8, first 2 shown]
	s_waitcnt lgkmcnt(0)
	s_barrier
	buffer_gl0_inv
	ds_load_b128 v[2:5], v70 offset:8064
	ds_load_b128 v[6:9], v70 offset:7168
	s_waitcnt lgkmcnt(1)
	v_mul_f64 v[0:1], v[118:119], v[4:5]
	s_delay_alu instid0(VALU_DEP_1) | instskip(SKIP_1) | instid1(VALU_DEP_1)
	v_fma_f64 v[32:33], v[116:117], v[2:3], v[0:1]
	v_mul_f64 v[0:1], v[118:119], v[2:3]
	v_fma_f64 v[34:35], v[116:117], v[4:5], -v[0:1]
	ds_load_b128 v[2:5], v70 offset:13440
	ds_load_b128 v[10:13], v70 offset:12544
	s_waitcnt lgkmcnt(1)
	v_mul_f64 v[0:1], v[110:111], v[4:5]
	s_delay_alu instid0(VALU_DEP_1) | instskip(SKIP_1) | instid1(VALU_DEP_1)
	v_fma_f64 v[36:37], v[108:109], v[2:3], v[0:1]
	v_mul_f64 v[0:1], v[110:111], v[2:3]
	v_fma_f64 v[38:39], v[108:109], v[4:5], -v[0:1]
	;; [unrolled: 8-line block ×3, first 2 shown]
	v_mul_f64 v[0:1], v[86:87], v[8:9]
	s_delay_alu instid0(VALU_DEP_1) | instskip(SKIP_1) | instid1(VALU_DEP_1)
	v_fma_f64 v[40:41], v[84:85], v[6:7], v[0:1]
	v_mul_f64 v[0:1], v[86:87], v[6:7]
	v_fma_f64 v[42:43], v[84:85], v[8:9], -v[0:1]
	ds_load_b128 v[2:5], v70 offset:8960
	ds_load_b128 v[6:9], v70 offset:9856
	s_waitcnt lgkmcnt(1)
	v_mul_f64 v[0:1], v[86:87], v[4:5]
	s_delay_alu instid0(VALU_DEP_1) | instskip(SKIP_1) | instid1(VALU_DEP_1)
	v_fma_f64 v[44:45], v[84:85], v[2:3], v[0:1]
	v_mul_f64 v[0:1], v[86:87], v[2:3]
	v_fma_f64 v[46:47], v[84:85], v[4:5], -v[0:1]
	ds_load_b128 v[2:5], v70 offset:10752
	ds_load_b128 v[18:21], v70 offset:11648
	s_waitcnt lgkmcnt(1)
	v_mul_f64 v[0:1], v[90:91], v[4:5]
	s_delay_alu instid0(VALU_DEP_1) | instskip(SKIP_1) | instid1(VALU_DEP_1)
	v_fma_f64 v[26:27], v[88:89], v[2:3], v[0:1]
	v_mul_f64 v[0:1], v[90:91], v[2:3]
	v_fma_f64 v[28:29], v[88:89], v[4:5], -v[0:1]
	v_mul_f64 v[0:1], v[90:91], v[12:13]
	s_delay_alu instid0(VALU_DEP_1) | instskip(SKIP_1) | instid1(VALU_DEP_1)
	v_fma_f64 v[48:49], v[88:89], v[10:11], v[0:1]
	v_mul_f64 v[0:1], v[90:91], v[10:11]
	v_fma_f64 v[50:51], v[88:89], v[12:13], -v[0:1]
	ds_load_b128 v[2:5], v70 offset:14336
	ds_load_b128 v[10:13], v70 offset:15232
	scratch_load_b128 v[58:61], off, off offset:428 ; 16-byte Folded Reload
	s_waitcnt lgkmcnt(1)
	v_mul_f64 v[0:1], v[90:91], v[4:5]
	s_delay_alu instid0(VALU_DEP_1)
	v_fma_f64 v[52:53], v[88:89], v[2:3], v[0:1]
	v_mul_f64 v[0:1], v[90:91], v[2:3]
	scratch_load_b64 v[2:3], off, off offset:484 ; 8-byte Folded Reload
	v_fma_f64 v[54:55], v[88:89], v[4:5], -v[0:1]
	scratch_load_b64 v[4:5], off, off offset:388 ; 8-byte Folded Reload
	s_waitcnt vmcnt(1) lgkmcnt(0)
	v_mul_f64 v[0:1], v[2:3], v[12:13]
	v_mul_f64 v[2:3], v[2:3], v[10:11]
	s_delay_alu instid0(VALU_DEP_2) | instskip(NEXT) | instid1(VALU_DEP_2)
	v_fma_f64 v[56:57], v[58:59], v[10:11], v[0:1]
	v_fma_f64 v[58:59], v[58:59], v[12:13], -v[2:3]
	scratch_load_b128 v[10:13], off, off offset:412 ; 16-byte Folded Reload
	v_mul_f64 v[0:1], v[60:61], v[20:21]
	v_mul_f64 v[2:3], v[60:61], v[18:19]
	s_waitcnt vmcnt(0)
	s_delay_alu instid0(VALU_DEP_2) | instskip(NEXT) | instid1(VALU_DEP_2)
	v_fma_f64 v[60:61], v[12:13], v[18:19], v[0:1]
	v_fma_f64 v[62:63], v[12:13], v[20:21], -v[2:3]
	v_mul_f64 v[0:1], v[10:11], v[8:9]
	v_mul_f64 v[2:3], v[10:11], v[6:7]
	scratch_load_b128 v[10:13], off, off offset:396 ; 16-byte Folded Reload
	s_waitcnt vmcnt(0)
	v_fma_f64 v[64:65], v[10:11], v[6:7], v[0:1]
	v_fma_f64 v[66:67], v[10:11], v[8:9], -v[2:3]
	v_mul_f64 v[0:1], v[12:13], v[16:17]
	v_mul_f64 v[2:3], v[12:13], v[14:15]
	v_add_f64 v[8:9], v[22:23], v[26:27]
	v_add_f64 v[12:13], v[24:25], -v[28:29]
	s_delay_alu instid0(VALU_DEP_4) | instskip(NEXT) | instid1(VALU_DEP_4)
	v_fma_f64 v[68:69], v[4:5], v[14:15], v[0:1]
	v_fma_f64 v[71:72], v[4:5], v[16:17], -v[2:3]
	ds_load_b128 v[0:3], v70
	ds_load_b128 v[4:7], v70 offset:896
	v_add_f64 v[16:17], v[22:23], -v[26:27]
	s_waitcnt lgkmcnt(1)
	v_fma_f64 v[10:11], v[8:9], -0.5, v[0:1]
	v_add_f64 v[8:9], v[24:25], v[28:29]
	v_add_f64 v[0:1], v[0:1], v[22:23]
	s_delay_alu instid0(VALU_DEP_2) | instskip(SKIP_1) | instid1(VALU_DEP_3)
	v_fma_f64 v[14:15], v[8:9], -0.5, v[2:3]
	v_add_f64 v[2:3], v[2:3], v[24:25]
	v_add_f64 v[0:1], v[0:1], v[26:27]
	v_fma_f64 v[8:9], v[12:13], s[0:1], v[10:11]
	v_fma_f64 v[12:13], v[12:13], s[8:9], v[10:11]
	;; [unrolled: 1-line block ×3, first 2 shown]
	v_add_f64 v[2:3], v[2:3], v[28:29]
	v_fma_f64 v[14:15], v[16:17], s[0:1], v[14:15]
	ds_load_b128 v[16:19], v70 offset:1792
	ds_load_b128 v[20:23], v70 offset:2688
	;; [unrolled: 1-line block ×4, first 2 shown]
	s_waitcnt lgkmcnt(0)
	s_barrier
	buffer_gl0_inv
	scratch_load_b32 v73, off, off offset:568 ; 4-byte Folded Reload
	s_waitcnt vmcnt(0)
	ds_store_b128 v73, v[0:3]
	ds_store_b128 v73, v[8:11] offset:256
	ds_store_b128 v73, v[12:15] offset:512
	v_add_f64 v[0:1], v[68:69], v[60:61]
	v_add_f64 v[12:13], v[68:69], -v[60:61]
	s_delay_alu instid0(VALU_DEP_2) | instskip(SKIP_2) | instid1(VALU_DEP_2)
	v_fma_f64 v[8:9], v[0:1], -0.5, v[4:5]
	v_add_f64 v[0:1], v[71:72], v[62:63]
	v_add_f64 v[4:5], v[4:5], v[68:69]
	v_fma_f64 v[10:11], v[0:1], -0.5, v[6:7]
	v_add_f64 v[0:1], v[6:7], v[71:72]
	v_add_f64 v[6:7], v[71:72], -v[62:63]
	s_delay_alu instid0(VALU_DEP_2) | instskip(SKIP_1) | instid1(VALU_DEP_3)
	v_add_f64 v[2:3], v[0:1], v[62:63]
	v_add_f64 v[0:1], v[4:5], v[60:61]
	v_fma_f64 v[4:5], v[6:7], s[0:1], v[8:9]
	v_fma_f64 v[8:9], v[6:7], s[8:9], v[8:9]
	v_fma_f64 v[6:7], v[12:13], s[8:9], v[10:11]
	v_fma_f64 v[10:11], v[12:13], s[0:1], v[10:11]
	scratch_load_b32 v12, off, off offset:564 ; 4-byte Folded Reload
	s_waitcnt vmcnt(0)
	ds_store_b128 v12, v[0:3]
	ds_store_b128 v12, v[4:7] offset:256
	ds_store_b128 v12, v[8:11] offset:512
	v_add_f64 v[0:1], v[40:41], v[48:49]
	v_add_f64 v[4:5], v[16:17], v[40:41]
	v_add_f64 v[8:9], v[42:43], -v[50:51]
	v_add_f64 v[12:13], v[40:41], -v[48:49]
	s_delay_alu instid0(VALU_DEP_4) | instskip(SKIP_1) | instid1(VALU_DEP_1)
	v_fma_f64 v[6:7], v[0:1], -0.5, v[16:17]
	v_add_f64 v[0:1], v[42:43], v[50:51]
	v_fma_f64 v[10:11], v[0:1], -0.5, v[18:19]
	v_add_f64 v[0:1], v[18:19], v[42:43]
	s_delay_alu instid0(VALU_DEP_1)
	v_add_f64 v[2:3], v[0:1], v[50:51]
	v_add_f64 v[0:1], v[4:5], v[48:49]
	v_fma_f64 v[4:5], v[8:9], s[0:1], v[6:7]
	v_fma_f64 v[8:9], v[8:9], s[8:9], v[6:7]
	v_fma_f64 v[6:7], v[12:13], s[8:9], v[10:11]
	v_fma_f64 v[10:11], v[12:13], s[0:1], v[10:11]
	scratch_load_b32 v12, off, off offset:560 ; 4-byte Folded Reload
	s_waitcnt vmcnt(0)
	ds_store_b128 v12, v[0:3]
	ds_store_b128 v12, v[4:7] offset:256
	ds_store_b128 v12, v[8:11] offset:512
	v_add_f64 v[0:1], v[32:33], v[36:37]
	v_add_f64 v[4:5], v[20:21], v[32:33]
	v_add_f64 v[8:9], v[34:35], -v[38:39]
	v_add_f64 v[12:13], v[32:33], -v[36:37]
	s_delay_alu instid0(VALU_DEP_4) | instskip(SKIP_1) | instid1(VALU_DEP_1)
	v_fma_f64 v[6:7], v[0:1], -0.5, v[20:21]
	v_add_f64 v[0:1], v[34:35], v[38:39]
	v_fma_f64 v[10:11], v[0:1], -0.5, v[22:23]
	v_add_f64 v[0:1], v[22:23], v[34:35]
	s_delay_alu instid0(VALU_DEP_1)
	;; [unrolled: 21-line block ×4, first 2 shown]
	v_add_f64 v[2:3], v[0:1], v[58:59]
	v_add_f64 v[0:1], v[4:5], v[56:57]
	v_fma_f64 v[4:5], v[8:9], s[0:1], v[6:7]
	v_fma_f64 v[8:9], v[8:9], s[8:9], v[6:7]
	;; [unrolled: 1-line block ×4, first 2 shown]
	scratch_load_b32 v12, off, off offset:536 ; 4-byte Folded Reload
	s_waitcnt vmcnt(0)
	ds_store_b128 v12, v[0:3]
	ds_store_b128 v12, v[4:7] offset:256
	ds_store_b128 v12, v[8:11] offset:512
	s_waitcnt lgkmcnt(0)
	s_barrier
	buffer_gl0_inv
	ds_load_b128 v[0:3], v70 offset:5376
	ds_load_b128 v[4:7], v70 offset:6272
	s_waitcnt lgkmcnt(1)
	v_mul_f64 v[8:9], v[106:107], v[2:3]
	v_mul_f64 v[10:11], v[106:107], v[0:1]
	s_delay_alu instid0(VALU_DEP_2) | instskip(NEXT) | instid1(VALU_DEP_2)
	v_fma_f64 v[12:13], v[104:105], v[0:1], v[8:9]
	v_fma_f64 v[14:15], v[104:105], v[2:3], -v[10:11]
	ds_load_b128 v[0:3], v70 offset:10752
	ds_load_b128 v[8:11], v70 offset:11648
	s_waitcnt lgkmcnt(1)
	v_mul_f64 v[16:17], v[122:123], v[2:3]
	s_delay_alu instid0(VALU_DEP_1) | instskip(SKIP_1) | instid1(VALU_DEP_1)
	v_fma_f64 v[16:17], v[120:121], v[0:1], v[16:17]
	v_mul_f64 v[0:1], v[122:123], v[0:1]
	v_fma_f64 v[18:19], v[120:121], v[2:3], -v[0:1]
	v_mul_f64 v[0:1], v[142:143], v[6:7]
	v_mul_f64 v[2:3], v[142:143], v[4:5]
	s_delay_alu instid0(VALU_DEP_3) | instskip(NEXT) | instid1(VALU_DEP_3)
	v_add_f64 v[22:23], v[14:15], v[18:19]
	v_fma_f64 v[32:33], v[140:141], v[4:5], v[0:1]
	s_delay_alu instid0(VALU_DEP_3)
	v_fma_f64 v[34:35], v[140:141], v[6:7], -v[2:3]
	s_waitcnt lgkmcnt(0)
	v_mul_f64 v[4:5], v[130:131], v[10:11]
	v_mul_f64 v[6:7], v[130:131], v[8:9]
	ds_load_b128 v[0:3], v70 offset:7168
	v_fma_f64 v[36:37], v[128:129], v[8:9], v[4:5]
	v_fma_f64 v[38:39], v[128:129], v[10:11], -v[6:7]
	ds_load_b128 v[4:7], v70 offset:8064
	s_waitcnt lgkmcnt(1)
	v_mul_f64 v[8:9], v[138:139], v[2:3]
	v_mul_f64 v[10:11], v[138:139], v[0:1]
	s_delay_alu instid0(VALU_DEP_2) | instskip(NEXT) | instid1(VALU_DEP_2)
	v_fma_f64 v[40:41], v[136:137], v[0:1], v[8:9]
	v_fma_f64 v[42:43], v[136:137], v[2:3], -v[10:11]
	ds_load_b128 v[0:3], v70 offset:12544
	ds_load_b128 v[8:11], v70 offset:13440
	s_waitcnt lgkmcnt(1)
	v_mul_f64 v[20:21], v[154:155], v[2:3]
	s_delay_alu instid0(VALU_DEP_1) | instskip(SKIP_1) | instid1(VALU_DEP_1)
	v_fma_f64 v[44:45], v[152:153], v[0:1], v[20:21]
	v_mul_f64 v[0:1], v[154:155], v[0:1]
	v_fma_f64 v[46:47], v[152:153], v[2:3], -v[0:1]
	v_mul_f64 v[0:1], v[170:171], v[6:7]
	v_mul_f64 v[2:3], v[170:171], v[4:5]
	s_delay_alu instid0(VALU_DEP_2) | instskip(NEXT) | instid1(VALU_DEP_2)
	v_fma_f64 v[48:49], v[168:169], v[4:5], v[0:1]
	v_fma_f64 v[50:51], v[168:169], v[6:7], -v[2:3]
	s_waitcnt lgkmcnt(0)
	v_mul_f64 v[4:5], v[166:167], v[10:11]
	v_mul_f64 v[6:7], v[166:167], v[8:9]
	ds_load_b128 v[0:3], v70 offset:8960
	v_fma_f64 v[52:53], v[164:165], v[8:9], v[4:5]
	v_fma_f64 v[54:55], v[164:165], v[10:11], -v[6:7]
	ds_load_b128 v[4:7], v70 offset:9856
	s_waitcnt lgkmcnt(1)
	v_mul_f64 v[8:9], v[174:175], v[2:3]
	v_mul_f64 v[10:11], v[174:175], v[0:1]
	s_delay_alu instid0(VALU_DEP_2) | instskip(NEXT) | instid1(VALU_DEP_2)
	v_fma_f64 v[56:57], v[172:173], v[0:1], v[8:9]
	v_fma_f64 v[58:59], v[172:173], v[2:3], -v[10:11]
	ds_load_b128 v[0:3], v70 offset:14336
	ds_load_b128 v[8:11], v70 offset:15232
	s_waitcnt lgkmcnt(1)
	v_mul_f64 v[20:21], v[178:179], v[2:3]
	s_delay_alu instid0(VALU_DEP_1) | instskip(SKIP_2) | instid1(VALU_DEP_2)
	v_fma_f64 v[60:61], v[176:177], v[0:1], v[20:21]
	v_mul_f64 v[0:1], v[178:179], v[0:1]
	v_add_f64 v[20:21], v[12:13], v[16:17]
	v_fma_f64 v[62:63], v[176:177], v[2:3], -v[0:1]
	v_mul_f64 v[0:1], v[182:183], v[6:7]
	v_mul_f64 v[2:3], v[182:183], v[4:5]
	s_delay_alu instid0(VALU_DEP_2) | instskip(NEXT) | instid1(VALU_DEP_2)
	v_fma_f64 v[64:65], v[180:181], v[4:5], v[0:1]
	v_fma_f64 v[66:67], v[180:181], v[6:7], -v[2:3]
	s_waitcnt lgkmcnt(0)
	v_mul_f64 v[0:1], v[114:115], v[10:11]
	v_mul_f64 v[2:3], v[114:115], v[8:9]
	s_delay_alu instid0(VALU_DEP_2) | instskip(NEXT) | instid1(VALU_DEP_2)
	v_fma_f64 v[68:69], v[112:113], v[8:9], v[0:1]
	v_fma_f64 v[76:77], v[112:113], v[10:11], -v[2:3]
	ds_load_b128 v[0:3], v70
	ds_load_b128 v[4:7], v70 offset:896
	s_waitcnt lgkmcnt(1)
	v_fma_f64 v[10:11], v[20:21], -0.5, v[0:1]
	v_fma_f64 v[20:21], v[22:23], -0.5, v[2:3]
	v_add_f64 v[2:3], v[2:3], v[14:15]
	v_add_f64 v[0:1], v[0:1], v[12:13]
	v_add_f64 v[14:15], v[14:15], -v[18:19]
	v_add_f64 v[22:23], v[12:13], -v[16:17]
	s_delay_alu instid0(VALU_DEP_4) | instskip(NEXT) | instid1(VALU_DEP_4)
	v_add_f64 v[2:3], v[2:3], v[18:19]
	v_add_f64 v[0:1], v[0:1], v[16:17]
	s_delay_alu instid0(VALU_DEP_4)
	v_fma_f64 v[8:9], v[14:15], s[0:1], v[10:11]
	v_fma_f64 v[12:13], v[14:15], s[8:9], v[10:11]
	;; [unrolled: 1-line block ×4, first 2 shown]
	ds_load_b128 v[16:19], v70 offset:1792
	ds_load_b128 v[20:23], v70 offset:2688
	;; [unrolled: 1-line block ×4, first 2 shown]
	s_waitcnt lgkmcnt(0)
	s_barrier
	buffer_gl0_inv
	scratch_load_b32 v71, off, off offset:544 ; 4-byte Folded Reload
	s_waitcnt vmcnt(0)
	ds_store_b128 v71, v[0:3]
	ds_store_b128 v71, v[8:11] offset:768
	ds_store_b128 v71, v[12:15] offset:1536
	v_add_f64 v[0:1], v[32:33], v[36:37]
	v_add_f64 v[12:13], v[32:33], -v[36:37]
	s_delay_alu instid0(VALU_DEP_2) | instskip(SKIP_2) | instid1(VALU_DEP_2)
	v_fma_f64 v[8:9], v[0:1], -0.5, v[4:5]
	v_add_f64 v[0:1], v[34:35], v[38:39]
	v_add_f64 v[4:5], v[4:5], v[32:33]
	v_fma_f64 v[10:11], v[0:1], -0.5, v[6:7]
	v_add_f64 v[0:1], v[6:7], v[34:35]
	v_add_f64 v[6:7], v[34:35], -v[38:39]
	s_delay_alu instid0(VALU_DEP_2) | instskip(SKIP_1) | instid1(VALU_DEP_3)
	v_add_f64 v[2:3], v[0:1], v[38:39]
	v_add_f64 v[0:1], v[4:5], v[36:37]
	v_fma_f64 v[4:5], v[6:7], s[0:1], v[8:9]
	v_fma_f64 v[8:9], v[6:7], s[8:9], v[8:9]
	v_fma_f64 v[6:7], v[12:13], s[8:9], v[10:11]
	v_fma_f64 v[10:11], v[12:13], s[0:1], v[10:11]
	v_add_f64 v[12:13], v[40:41], v[44:45]
	v_add_f64 v[36:37], v[40:41], -v[44:45]
	s_delay_alu instid0(VALU_DEP_2) | instskip(SKIP_3) | instid1(VALU_DEP_3)
	v_fma_f64 v[32:33], v[12:13], -0.5, v[16:17]
	v_add_f64 v[12:13], v[42:43], v[46:47]
	v_add_f64 v[16:17], v[16:17], v[40:41]
	v_add_f64 v[40:41], v[50:51], -v[54:55]
	v_fma_f64 v[34:35], v[12:13], -0.5, v[18:19]
	v_add_f64 v[12:13], v[18:19], v[42:43]
	v_add_f64 v[18:19], v[42:43], -v[46:47]
	s_delay_alu instid0(VALU_DEP_2) | instskip(SKIP_1) | instid1(VALU_DEP_3)
	v_add_f64 v[14:15], v[12:13], v[46:47]
	v_add_f64 v[12:13], v[16:17], v[44:45]
	v_fma_f64 v[16:17], v[18:19], s[0:1], v[32:33]
	v_fma_f64 v[32:33], v[18:19], s[8:9], v[32:33]
	;; [unrolled: 1-line block ×4, first 2 shown]
	v_add_f64 v[36:37], v[48:49], v[52:53]
	v_add_f64 v[44:45], v[48:49], -v[52:53]
	s_delay_alu instid0(VALU_DEP_2) | instskip(SKIP_2) | instid1(VALU_DEP_2)
	v_fma_f64 v[38:39], v[36:37], -0.5, v[20:21]
	v_add_f64 v[36:37], v[50:51], v[54:55]
	v_add_f64 v[20:21], v[20:21], v[48:49]
	v_fma_f64 v[42:43], v[36:37], -0.5, v[22:23]
	s_delay_alu instid0(VALU_DEP_4)
	v_fma_f64 v[36:37], v[40:41], s[0:1], v[38:39]
	v_fma_f64 v[40:41], v[40:41], s[8:9], v[38:39]
	v_add_f64 v[22:23], v[22:23], v[50:51]
	v_add_f64 v[20:21], v[20:21], v[52:53]
	v_add_f64 v[50:51], v[58:59], -v[62:63]
	v_add_f64 v[52:53], v[56:57], -v[60:61]
	v_fma_f64 v[38:39], v[44:45], s[8:9], v[42:43]
	v_fma_f64 v[42:43], v[44:45], s[0:1], v[42:43]
	v_add_f64 v[44:45], v[56:57], v[60:61]
	v_add_f64 v[22:23], v[22:23], v[54:55]
	s_delay_alu instid0(VALU_DEP_2) | instskip(SKIP_2) | instid1(VALU_DEP_3)
	v_fma_f64 v[46:47], v[44:45], -0.5, v[24:25]
	v_add_f64 v[44:45], v[58:59], v[62:63]
	v_add_f64 v[24:25], v[24:25], v[56:57]
	v_fma_f64 v[72:73], v[50:51], s[8:9], v[46:47]
	s_delay_alu instid0(VALU_DEP_3)
	v_fma_f64 v[48:49], v[44:45], -0.5, v[26:27]
	v_fma_f64 v[44:45], v[50:51], s[0:1], v[46:47]
	v_add_f64 v[50:51], v[66:67], v[76:77]
	v_add_f64 v[26:27], v[26:27], v[58:59]
	v_add_f64 v[24:25], v[24:25], v[60:61]
	v_fma_f64 v[46:47], v[52:53], s[8:9], v[48:49]
	v_fma_f64 v[74:75], v[52:53], s[0:1], v[48:49]
	v_add_f64 v[48:49], v[64:65], v[68:69]
	v_fma_f64 v[50:51], v[50:51], -0.5, v[30:31]
	v_add_f64 v[30:31], v[30:31], v[66:67]
	v_add_f64 v[52:53], v[66:67], -v[76:77]
	v_add_f64 v[26:27], v[26:27], v[62:63]
	v_fma_f64 v[48:49], v[48:49], -0.5, v[28:29]
	v_add_f64 v[28:29], v[28:29], v[64:65]
	v_add_f64 v[78:79], v[30:31], v[76:77]
	s_delay_alu instid0(VALU_DEP_3) | instskip(NEXT) | instid1(VALU_DEP_3)
	v_fma_f64 v[80:81], v[52:53], s[0:1], v[48:49]
	v_add_f64 v[76:77], v[28:29], v[68:69]
	v_add_f64 v[28:29], v[64:65], -v[68:69]
	v_fma_f64 v[84:85], v[52:53], s[8:9], v[48:49]
	s_delay_alu instid0(VALU_DEP_2)
	v_fma_f64 v[82:83], v[28:29], s[8:9], v[50:51]
	v_fma_f64 v[86:87], v[28:29], s[0:1], v[50:51]
	scratch_load_b32 v28, off, off offset:524 ; 4-byte Folded Reload
	s_waitcnt vmcnt(0)
	ds_store_b128 v28, v[0:3]
	ds_store_b128 v28, v[4:7] offset:768
	ds_store_b128 v28, v[8:11] offset:1536
	scratch_load_b32 v0, off, off offset:528 ; 4-byte Folded Reload
	s_waitcnt vmcnt(0)
	ds_store_b128 v0, v[12:15]
	ds_store_b128 v0, v[16:19] offset:768
	ds_store_b128 v0, v[32:35] offset:1536
	;; [unrolled: 5-line block ×5, first 2 shown]
	s_waitcnt lgkmcnt(0)
	s_barrier
	buffer_gl0_inv
	ds_load_b128 v[92:95], v70
	ds_load_b128 v[88:91], v70 offset:896
	ds_load_b128 v[136:139], v70 offset:2304
	;; [unrolled: 1-line block ×13, first 2 shown]
	s_and_saveexec_b32 s0, vcc_lo
	s_cbranch_execz .LBB0_7
; %bb.6:
	ds_load_b128 v[72:75], v70 offset:1792
	ds_load_b128 v[76:79], v70 offset:4096
	ds_load_b128 v[80:83], v70 offset:6400
	ds_load_b128 v[84:87], v70 offset:8704
	ds_load_b128 v[124:127], v70 offset:11008
	ds_load_b128 v[132:135], v70 offset:13312
	ds_load_b128 v[144:147], v70 offset:15616
.LBB0_7:
	s_or_b32 exec_lo, exec_lo, s0
	s_waitcnt lgkmcnt(11)
	v_mul_f64 v[0:1], v[186:187], v[138:139]
	v_mul_f64 v[2:3], v[186:187], v[136:137]
	s_waitcnt lgkmcnt(9)
	v_mul_f64 v[4:5], v[190:191], v[142:143]
	v_mul_f64 v[6:7], v[190:191], v[140:141]
	;; [unrolled: 3-line block ×3, first 2 shown]
	v_mul_f64 v[12:13], v[202:203], v[154:155]
	v_mul_f64 v[14:15], v[202:203], v[152:153]
	;; [unrolled: 1-line block ×6, first 2 shown]
	s_waitcnt lgkmcnt(0)
	v_mul_f64 v[24:25], v[222:223], v[130:131]
	v_mul_f64 v[26:27], v[222:223], v[128:129]
	;; [unrolled: 1-line block ×12, first 2 shown]
	s_mov_b32 s12, 0x37e14327
	s_mov_b32 s14, 0xe976ee23
	;; [unrolled: 1-line block ×14, first 2 shown]
	v_fma_f64 v[0:1], v[184:185], v[136:137], v[0:1]
	v_fma_f64 v[2:3], v[184:185], v[138:139], -v[2:3]
	v_fma_f64 v[4:5], v[188:189], v[140:141], v[4:5]
	v_fma_f64 v[6:7], v[188:189], v[142:143], -v[6:7]
	v_fma_f64 v[8:9], v[196:197], v[164:165], v[8:9]
	v_fma_f64 v[10:11], v[196:197], v[166:167], -v[10:11]
	v_fma_f64 v[12:13], v[200:201], v[152:153], v[12:13]
	v_fma_f64 v[14:15], v[200:201], v[154:155], -v[14:15]
	v_fma_f64 v[16:17], v[208:209], v[112:113], v[16:17]
	v_fma_f64 v[18:19], v[208:209], v[114:115], -v[18:19]
	v_fma_f64 v[20:21], v[212:213], v[116:117], v[20:21]
	v_fma_f64 v[22:23], v[212:213], v[118:119], -v[22:23]
	v_fma_f64 v[24:25], v[220:221], v[128:129], v[24:25]
	v_fma_f64 v[26:27], v[220:221], v[130:131], -v[26:27]
	v_fma_f64 v[28:29], v[224:225], v[120:121], v[28:29]
	v_fma_f64 v[30:31], v[224:225], v[122:123], -v[30:31]
	v_fma_f64 v[32:33], v[192:193], v[104:105], v[32:33]
	v_fma_f64 v[34:35], v[192:193], v[106:107], -v[34:35]
	v_fma_f64 v[36:37], v[204:205], v[108:109], v[36:37]
	v_fma_f64 v[38:39], v[204:205], v[110:111], -v[38:39]
	v_fma_f64 v[40:41], v[216:217], v[96:97], v[40:41]
	v_fma_f64 v[42:43], v[216:217], v[98:99], -v[42:43]
	v_fma_f64 v[44:45], v[228:229], v[100:101], v[44:45]
	v_fma_f64 v[46:47], v[228:229], v[102:103], -v[46:47]
	s_mov_b32 s19, 0xbfe77f67
	s_mov_b32 s18, s16
	;; [unrolled: 1-line block ×6, first 2 shown]
	v_add_f64 v[48:49], v[0:1], v[8:9]
	v_add_f64 v[50:51], v[2:3], v[10:11]
	;; [unrolled: 1-line block ×4, first 2 shown]
	v_add_f64 v[4:5], v[4:5], -v[12:13]
	v_add_f64 v[6:7], v[6:7], -v[14:15]
	;; [unrolled: 1-line block ×4, first 2 shown]
	v_add_f64 v[56:57], v[16:17], v[24:25]
	v_add_f64 v[58:59], v[18:19], v[26:27]
	;; [unrolled: 1-line block ×4, first 2 shown]
	v_add_f64 v[20:21], v[20:21], -v[28:29]
	v_add_f64 v[22:23], v[22:23], -v[30:31]
	v_add_f64 v[64:65], v[32:33], v[36:37]
	v_add_f64 v[66:67], v[34:35], v[38:39]
	v_add_f64 v[12:13], v[36:37], -v[32:33]
	v_add_f64 v[14:15], v[38:39], -v[34:35]
	v_add_f64 v[28:29], v[40:41], v[44:45]
	v_add_f64 v[30:31], v[42:43], v[46:47]
	v_add_f64 v[32:33], v[44:45], -v[40:41]
	v_add_f64 v[34:35], v[46:47], -v[42:43]
	;; [unrolled: 1-line block ×4, first 2 shown]
	v_add_f64 v[0:1], v[52:53], v[48:49]
	v_add_f64 v[2:3], v[54:55], v[50:51]
	v_add_f64 v[68:69], v[4:5], -v[8:9]
	v_add_f64 v[96:97], v[6:7], -v[10:11]
	v_add_f64 v[24:25], v[60:61], v[56:57]
	v_add_f64 v[26:27], v[62:63], v[58:59]
	v_add_f64 v[36:37], v[48:49], -v[64:65]
	v_add_f64 v[38:39], v[50:51], -v[66:67]
	v_add_f64 v[40:41], v[64:65], -v[52:53]
	v_add_f64 v[42:43], v[66:67], -v[54:55]
	v_add_f64 v[44:45], v[12:13], -v[4:5]
	v_add_f64 v[46:47], v[14:15], -v[6:7]
	v_add_f64 v[98:99], v[56:57], -v[28:29]
	v_add_f64 v[100:101], v[58:59], -v[30:31]
	v_add_f64 v[102:103], v[32:33], -v[20:21]
	v_add_f64 v[104:105], v[34:35], -v[22:23]
	v_add_f64 v[106:107], v[20:21], -v[16:17]
	v_add_f64 v[108:109], v[22:23], -v[18:19]
	v_add_f64 v[48:49], v[52:53], -v[48:49]
	v_add_f64 v[50:51], v[54:55], -v[50:51]
	v_add_f64 v[52:53], v[12:13], v[4:5]
	v_add_f64 v[54:55], v[14:15], v[6:7]
	v_add_f64 v[12:13], v[8:9], -v[12:13]
	v_add_f64 v[14:15], v[10:11], -v[14:15]
	v_add_f64 v[20:21], v[32:33], v[20:21]
	v_add_f64 v[22:23], v[34:35], v[22:23]
	v_add_f64 v[32:33], v[16:17], -v[32:33]
	v_add_f64 v[34:35], v[18:19], -v[34:35]
	;; [unrolled: 1-line block ×4, first 2 shown]
	v_add_f64 v[64:65], v[64:65], v[0:1]
	v_add_f64 v[66:67], v[66:67], v[2:3]
	v_mul_f64 v[114:115], v[68:69], s[0:1]
	v_mul_f64 v[116:117], v[96:97], s[0:1]
	v_add_f64 v[24:25], v[28:29], v[24:25]
	v_add_f64 v[26:27], v[30:31], v[26:27]
	v_add_f64 v[28:29], v[28:29], -v[60:61]
	v_add_f64 v[30:31], v[30:31], -v[62:63]
	v_mul_f64 v[36:37], v[36:37], s[12:13]
	v_mul_f64 v[38:39], v[38:39], s[12:13]
	;; [unrolled: 1-line block ×6, first 2 shown]
	v_add_f64 v[8:9], v[52:53], v[8:9]
	v_add_f64 v[10:11], v[54:55], v[10:11]
	;; [unrolled: 1-line block ×6, first 2 shown]
	v_mul_f64 v[92:93], v[98:99], s[12:13]
	v_mul_f64 v[94:95], v[100:101], s[12:13]
	;; [unrolled: 1-line block ×6, first 2 shown]
	v_add_f64 v[4:5], v[88:89], v[24:25]
	v_add_f64 v[6:7], v[90:91], v[26:27]
	v_mul_f64 v[60:61], v[28:29], s[8:9]
	v_mul_f64 v[62:63], v[30:31], s[8:9]
	v_fma_f64 v[20:21], v[40:41], s[8:9], v[36:37]
	v_fma_f64 v[22:23], v[42:43], s[8:9], v[38:39]
	v_fma_f64 v[40:41], v[48:49], s[16:17], -v[110:111]
	v_fma_f64 v[42:43], v[50:51], s[16:17], -v[112:113]
	v_fma_f64 v[52:53], v[12:13], s[20:21], v[44:45]
	v_fma_f64 v[54:55], v[14:15], s[20:21], v[46:47]
	v_fma_f64 v[36:37], v[48:49], s[18:19], -v[36:37]
	v_fma_f64 v[38:39], v[50:51], s[18:19], -v[38:39]
	v_fma_f64 v[12:13], v[12:13], s[22:23], -v[114:115]
	v_fma_f64 v[14:15], v[14:15], s[22:23], -v[116:117]
	v_fma_f64 v[44:45], v[68:69], s[0:1], -v[44:45]
	v_fma_f64 v[46:47], v[96:97], s[0:1], -v[46:47]
	v_fma_f64 v[64:65], v[64:65], s[10:11], v[0:1]
	v_fma_f64 v[66:67], v[66:67], s[10:11], v[2:3]
	;; [unrolled: 1-line block ×6, first 2 shown]
	v_fma_f64 v[68:69], v[106:107], s[0:1], -v[98:99]
	v_fma_f64 v[88:89], v[108:109], s[0:1], -v[100:101]
	v_fma_f64 v[24:25], v[24:25], s[10:11], v[4:5]
	v_fma_f64 v[26:27], v[26:27], s[10:11], v[6:7]
	v_fma_f64 v[32:33], v[32:33], s[22:23], -v[102:103]
	v_fma_f64 v[34:35], v[34:35], s[22:23], -v[104:105]
	v_fma_f64 v[90:91], v[56:57], s[18:19], -v[92:93]
	v_fma_f64 v[92:93], v[58:59], s[18:19], -v[94:95]
	v_fma_f64 v[56:57], v[56:57], s[16:17], -v[60:61]
	v_fma_f64 v[58:59], v[58:59], s[16:17], -v[62:63]
	v_fma_f64 v[52:53], v[8:9], s[24:25], v[52:53]
	v_fma_f64 v[54:55], v[10:11], s[24:25], v[54:55]
	;; [unrolled: 1-line block ×6, first 2 shown]
	v_add_f64 v[94:95], v[20:21], v[64:65]
	v_add_f64 v[96:97], v[22:23], v[66:67]
	;; [unrolled: 1-line block ×6, first 2 shown]
	v_fma_f64 v[64:65], v[16:17], s[24:25], v[48:49]
	v_fma_f64 v[66:67], v[18:19], s[24:25], v[50:51]
	v_add_f64 v[98:99], v[28:29], v[24:25]
	v_add_f64 v[100:101], v[30:31], v[26:27]
	v_fma_f64 v[48:49], v[16:17], s[24:25], v[68:69]
	v_fma_f64 v[50:51], v[18:19], s[24:25], v[88:89]
	;; [unrolled: 1-line block ×4, first 2 shown]
	v_add_f64 v[90:91], v[90:91], v[24:25]
	v_add_f64 v[92:93], v[92:93], v[26:27]
	v_add_f64 v[56:57], v[56:57], v[24:25]
	v_add_f64 v[58:59], v[58:59], v[26:27]
	v_add_f64 v[8:9], v[54:55], v[94:95]
	v_add_f64 v[10:11], v[96:97], -v[52:53]
	v_add_f64 v[12:13], v[62:63], v[36:37]
	v_add_f64 v[14:15], v[38:39], -v[60:61]
	v_add_f64 v[24:25], v[36:37], -v[62:63]
	v_add_f64 v[26:27], v[60:61], v[38:39]
	v_add_f64 v[16:17], v[20:21], -v[46:47]
	v_add_f64 v[18:19], v[44:45], v[22:23]
	v_add_f64 v[32:33], v[66:67], v[98:99]
	v_add_f64 v[34:35], v[100:101], -v[64:65]
	v_add_f64 v[20:21], v[46:47], v[20:21]
	v_add_f64 v[22:23], v[22:23], -v[44:45]
	v_add_f64 v[28:29], v[94:95], -v[54:55]
	v_add_f64 v[30:31], v[52:53], v[96:97]
	v_add_f64 v[36:37], v[88:89], v[90:91]
	v_add_f64 v[38:39], v[92:93], -v[68:69]
	v_add_f64 v[40:41], v[56:57], -v[50:51]
	v_add_f64 v[42:43], v[48:49], v[58:59]
	;; [unrolled: 4-line block ×3, first 2 shown]
	v_add_f64 v[52:53], v[98:99], -v[66:67]
	v_add_f64 v[54:55], v[64:65], v[100:101]
	ds_store_b128 v70, v[0:3]
	ds_store_b128 v70, v[4:7] offset:896
	ds_store_b128 v70, v[8:11] offset:2304
	;; [unrolled: 1-line block ×13, first 2 shown]
	s_and_saveexec_b32 s26, vcc_lo
	s_cbranch_execz .LBB0_9
; %bb.8:
	s_clause 0x4
	scratch_load_b128 v[32:35], off, off offset:604
	scratch_load_b128 v[36:39], off, off offset:620
	;; [unrolled: 1-line block ×5, first 2 shown]
	s_waitcnt vmcnt(4)
	v_mul_f64 v[0:1], v[34:35], v[144:145]
	s_waitcnt vmcnt(3)
	v_mul_f64 v[4:5], v[38:39], v[132:133]
	v_mul_f64 v[14:15], v[38:39], v[134:135]
	scratch_load_b128 v[38:41], off, off offset:636 ; 16-byte Folded Reload
	s_waitcnt vmcnt(3)
	v_mul_f64 v[2:3], v[26:27], v[76:77]
	s_waitcnt vmcnt(2)
	v_mul_f64 v[6:7], v[30:31], v[80:81]
	v_mul_f64 v[8:9], v[26:27], v[78:79]
	;; [unrolled: 1-line block ×4, first 2 shown]
	s_waitcnt vmcnt(1)
	v_mul_f64 v[16:17], v[44:45], v[126:127]
	v_mul_f64 v[22:23], v[44:45], v[124:125]
	v_fma_f64 v[0:1], v[32:33], v[146:147], -v[0:1]
	v_fma_f64 v[4:5], v[36:37], v[134:135], -v[4:5]
	v_fma_f64 v[14:15], v[36:37], v[132:133], v[14:15]
	v_fma_f64 v[2:3], v[24:25], v[78:79], -v[2:3]
	v_fma_f64 v[6:7], v[28:29], v[82:83], -v[6:7]
	v_fma_f64 v[8:9], v[24:25], v[76:77], v[8:9]
	v_fma_f64 v[10:11], v[32:33], v[144:145], v[10:11]
	;; [unrolled: 1-line block ×4, first 2 shown]
	v_fma_f64 v[22:23], v[42:43], v[126:127], -v[22:23]
	v_add_f64 v[24:25], v[2:3], v[0:1]
	v_add_f64 v[26:27], v[6:7], v[4:5]
	v_add_f64 v[4:5], v[6:7], -v[4:5]
	v_add_f64 v[28:29], v[8:9], v[10:11]
	v_add_f64 v[30:31], v[12:13], v[14:15]
	v_add_f64 v[12:13], v[12:13], -v[14:15]
	v_add_f64 v[8:9], v[8:9], -v[10:11]
	;; [unrolled: 1-line block ×3, first 2 shown]
	v_add_f64 v[10:11], v[26:27], v[24:25]
	v_add_f64 v[0:1], v[30:31], v[28:29]
	s_delay_alu instid0(VALU_DEP_4) | instskip(NEXT) | instid1(VALU_DEP_1)
	v_add_f64 v[34:35], v[12:13], -v[8:9]
	v_mul_f64 v[44:45], v[34:35], s[0:1]
	s_waitcnt vmcnt(0)
	v_mul_f64 v[18:19], v[40:41], v[86:87]
	v_mul_f64 v[20:21], v[40:41], v[84:85]
	s_delay_alu instid0(VALU_DEP_2) | instskip(NEXT) | instid1(VALU_DEP_2)
	v_fma_f64 v[18:19], v[38:39], v[84:85], v[18:19]
	v_fma_f64 v[20:21], v[38:39], v[86:87], -v[20:21]
	v_add_f64 v[38:39], v[4:5], -v[6:7]
	s_delay_alu instid0(VALU_DEP_3) | instskip(NEXT) | instid1(VALU_DEP_3)
	v_add_f64 v[32:33], v[16:17], -v[18:19]
	v_add_f64 v[14:15], v[20:21], v[22:23]
	v_add_f64 v[16:17], v[18:19], v[16:17]
	v_add_f64 v[18:19], v[22:23], -v[20:21]
	v_mul_f64 v[46:47], v[38:39], s[0:1]
	v_add_f64 v[2:3], v[32:33], -v[12:13]
	v_add_f64 v[20:21], v[24:25], -v[14:15]
	;; [unrolled: 1-line block ×3, first 2 shown]
	v_add_f64 v[10:11], v[14:15], v[10:11]
	v_add_f64 v[14:15], v[14:15], -v[26:27]
	v_add_f64 v[36:37], v[18:19], -v[4:5]
	v_add_f64 v[40:41], v[16:17], v[0:1]
	v_add_f64 v[16:17], v[16:17], -v[30:31]
	v_add_f64 v[42:43], v[8:9], -v[32:33]
	v_add_f64 v[12:13], v[32:33], v[12:13]
	v_add_f64 v[4:5], v[18:19], v[4:5]
	v_add_f64 v[18:19], v[6:7], -v[18:19]
	v_add_f64 v[24:25], v[26:27], -v[24:25]
	v_add_f64 v[28:29], v[30:31], -v[28:29]
	v_mul_f64 v[32:33], v[2:3], s[14:15]
	v_mul_f64 v[20:21], v[20:21], s[12:13]
	;; [unrolled: 1-line block ×3, first 2 shown]
	v_add_f64 v[2:3], v[74:75], v[10:11]
	v_mul_f64 v[26:27], v[14:15], s[8:9]
	v_mul_f64 v[36:37], v[36:37], s[14:15]
	v_add_f64 v[0:1], v[72:73], v[40:41]
	v_mul_f64 v[30:31], v[16:17], s[8:9]
	v_add_f64 v[8:9], v[12:13], v[8:9]
	v_add_f64 v[4:5], v[4:5], v[6:7]
	v_fma_f64 v[6:7], v[42:43], s[20:21], v[32:33]
	v_fma_f64 v[12:13], v[14:15], s[8:9], v[20:21]
	;; [unrolled: 1-line block ×3, first 2 shown]
	v_fma_f64 v[16:17], v[42:43], s[22:23], -v[44:45]
	v_fma_f64 v[32:33], v[34:35], s[0:1], -v[32:33]
	v_fma_f64 v[10:11], v[10:11], s[10:11], v[2:3]
	v_fma_f64 v[20:21], v[24:25], s[18:19], -v[20:21]
	v_fma_f64 v[24:25], v[24:25], s[16:17], -v[26:27]
	v_fma_f64 v[26:27], v[18:19], s[20:21], v[36:37]
	;; [unrolled: 3-line block ×4, first 2 shown]
	v_fma_f64 v[16:17], v[8:9], s[24:25], v[16:17]
	v_fma_f64 v[8:9], v[8:9], s[24:25], v[32:33]
	v_add_f64 v[12:13], v[12:13], v[10:11]
	v_add_f64 v[20:21], v[20:21], v[10:11]
	;; [unrolled: 1-line block ×3, first 2 shown]
	v_fma_f64 v[32:33], v[4:5], s[24:25], v[26:27]
	v_fma_f64 v[38:39], v[4:5], s[24:25], v[18:19]
	v_fma_f64 v[4:5], v[4:5], s[24:25], v[34:35]
	v_add_f64 v[34:35], v[14:15], v[36:37]
	v_add_f64 v[40:41], v[22:23], v[36:37]
	;; [unrolled: 1-line block ×3, first 2 shown]
	v_add_f64 v[26:27], v[12:13], -v[30:31]
	v_add_f64 v[10:11], v[16:17], v[20:21]
	v_add_f64 v[14:15], v[24:25], -v[8:9]
	v_add_f64 v[18:19], v[8:9], v[24:25]
	;; [unrolled: 2-line block ×3, first 2 shown]
	v_add_f64 v[24:25], v[32:33], v[34:35]
	v_add_f64 v[20:21], v[38:39], v[40:41]
	v_add_f64 v[16:17], v[28:29], -v[4:5]
	v_add_f64 v[12:13], v[4:5], v[28:29]
	v_add_f64 v[8:9], v[40:41], -v[38:39]
	v_add_f64 v[4:5], v[34:35], -v[32:33]
	ds_store_b128 v70, v[0:3] offset:1792
	ds_store_b128 v70, v[24:27] offset:4096
	;; [unrolled: 1-line block ×7, first 2 shown]
.LBB0_9:
	s_or_b32 exec_lo, exec_lo, s26
	s_waitcnt lgkmcnt(0)
	s_barrier
	buffer_gl0_inv
	ds_load_b128 v[0:3], v70
	ds_load_b128 v[4:7], v70 offset:8064
	ds_load_b128 v[8:11], v70 offset:896
	;; [unrolled: 1-line block ×3, first 2 shown]
	scratch_load_b64 v[16:17], off, off offset:4 ; 8-byte Folded Reload
	s_mov_b32 s0, 0x10410410
	s_mov_b32 s1, 0x3f504104
	s_mul_hi_u32 s8, s4, 0x1f80
	s_mul_i32 s9, s4, 0x1f80
	s_mul_hi_u32 s11, s4, 0xffffe400
	s_mul_i32 s10, s5, 0xffffe400
	s_mul_i32 s12, s4, 0xffffe400
	s_waitcnt vmcnt(0)
	v_mov_b32_e32 v87, v16
	ds_load_b128 v[16:19], v70 offset:9856
	ds_load_b128 v[20:23], v70 offset:7168
	scratch_load_b128 v[98:101], off, off offset:52 ; 16-byte Folded Reload
	ds_load_b128 v[24:27], v70 offset:1792
	ds_load_b128 v[28:31], v70 offset:2688
	v_mad_u64_u32 v[64:65], null, s6, v87, 0
	s_mul_i32 s6, s5, 0x1f80
	s_delay_alu instid0(SALU_CYCLE_1)
	s_add_i32 s8, s8, s6
	s_waitcnt vmcnt(0) lgkmcnt(7)
	v_mul_f64 v[66:67], v[100:101], v[2:3]
	v_mul_f64 v[68:69], v[100:101], v[0:1]
	scratch_load_b128 v[100:103], off, off offset:84 ; 16-byte Folded Reload
	v_mad_u64_u32 v[85:86], null, s7, v87, v[65:66]
	v_fma_f64 v[66:67], v[98:99], v[0:1], v[66:67]
	v_fma_f64 v[68:69], v[98:99], v[2:3], -v[68:69]
	s_sub_i32 s7, s11, s4
	s_delay_alu instid0(SALU_CYCLE_1)
	s_add_i32 s7, s7, s10
	s_waitcnt vmcnt(0) lgkmcnt(6)
	v_mul_f64 v[71:72], v[102:103], v[6:7]
	v_mul_f64 v[73:74], v[102:103], v[4:5]
	scratch_load_b128 v[102:105], off, off offset:100 ; 16-byte Folded Reload
	v_fma_f64 v[71:72], v[100:101], v[4:5], v[71:72]
	v_fma_f64 v[73:74], v[100:101], v[6:7], -v[73:74]
	s_waitcnt vmcnt(0) lgkmcnt(5)
	v_mul_f64 v[75:76], v[104:105], v[10:11]
	v_mul_f64 v[77:78], v[104:105], v[8:9]
	scratch_load_b128 v[104:107], off, off offset:292 ; 16-byte Folded Reload
	v_fma_f64 v[75:76], v[102:103], v[8:9], v[75:76]
	v_fma_f64 v[77:78], v[102:103], v[10:11], -v[77:78]
	v_mul_f64 v[10:11], v[68:69], s[0:1]
	s_waitcnt vmcnt(0) lgkmcnt(4)
	v_mul_f64 v[79:80], v[106:107], v[14:15]
	v_mul_f64 v[81:82], v[106:107], v[12:13]
	scratch_load_b32 v106, off, off         ; 4-byte Folded Reload
	ds_load_b128 v[32:35], v70 offset:10752
	ds_load_b128 v[36:39], v70 offset:11648
	;; [unrolled: 1-line block ×8, first 2 shown]
	s_clause 0x2
	scratch_load_b128 v[128:131], off, off offset:212
	scratch_load_b128 v[118:121], off, off offset:196
	;; [unrolled: 1-line block ×3, first 2 shown]
	v_fma_f64 v[79:80], v[104:105], v[12:13], v[79:80]
	v_mul_f64 v[12:13], v[71:72], s[0:1]
	v_fma_f64 v[81:82], v[104:105], v[14:15], -v[81:82]
	v_mul_f64 v[14:15], v[73:74], s[0:1]
	s_waitcnt vmcnt(3)
	v_mad_u64_u32 v[83:84], null, s4, v106, 0
	s_waitcnt vmcnt(2) lgkmcnt(11)
	v_mul_f64 v[90:91], v[130:131], v[18:19]
	s_waitcnt vmcnt(1) lgkmcnt(8)
	v_mul_f64 v[94:95], v[120:121], v[30:31]
	v_mul_f64 v[96:97], v[120:121], v[28:29]
	scratch_load_b128 v[120:123], off, off offset:260 ; 16-byte Folded Reload
	s_waitcnt vmcnt(1)
	v_mul_f64 v[86:87], v[136:137], v[26:27]
	v_mul_f64 v[88:89], v[136:137], v[24:25]
	scratch_load_b128 v[136:139], off, off offset:276 ; 16-byte Folded Reload
	ds_load_b128 v[0:3], v70 offset:14336
	ds_load_b128 v[4:7], v70 offset:15232
	v_mul_f64 v[92:93], v[130:131], v[16:17]
	v_mad_u64_u32 v[8:9], null, s5, v106, v[84:85]
	v_mov_b32_e32 v65, v85
	scratch_load_b128 v[130:133], off, off offset:180 ; 16-byte Folded Reload
	v_mov_b32_e32 v84, v8
	v_lshlrev_b64 v[8:9], 4, v[64:65]
	s_delay_alu instid0(VALU_DEP_2) | instskip(NEXT) | instid1(VALU_DEP_2)
	v_lshlrev_b64 v[83:84], 4, v[83:84]
	v_add_co_u32 v116, vcc_lo, s2, v8
	s_delay_alu instid0(VALU_DEP_3)
	v_add_co_ci_u32_e32 v117, vcc_lo, s3, v9, vcc_lo
	v_mul_f64 v[8:9], v[66:67], s[0:1]
	v_fma_f64 v[66:67], v[118:119], v[30:31], -v[96:97]
	v_fma_f64 v[85:86], v[134:135], v[24:25], v[86:87]
	v_fma_f64 v[87:88], v[134:135], v[26:27], -v[88:89]
	v_fma_f64 v[89:90], v[128:129], v[16:17], v[90:91]
	v_mul_f64 v[16:17], v[75:76], s[0:1]
	v_fma_f64 v[91:92], v[128:129], v[18:19], -v[92:93]
	v_fma_f64 v[93:94], v[118:119], v[28:29], v[94:95]
	v_mul_f64 v[18:19], v[77:78], s[0:1]
	v_mul_f64 v[24:25], v[79:80], s[0:1]
	;; [unrolled: 1-line block ×5, first 2 shown]
	s_waitcnt vmcnt(2) lgkmcnt(9)
	v_mul_f64 v[98:99], v[122:123], v[34:35]
	v_mul_f64 v[100:101], v[122:123], v[32:33]
	scratch_load_b128 v[122:125], off, off offset:132 ; 16-byte Folded Reload
	s_waitcnt vmcnt(2) lgkmcnt(7)
	v_mul_f64 v[104:105], v[138:139], v[40:41]
	v_mul_f64 v[102:103], v[138:139], v[42:43]
	s_waitcnt vmcnt(1) lgkmcnt(5)
	v_mul_f64 v[112:113], v[132:133], v[50:51]
	v_mul_f64 v[114:115], v[132:133], v[48:49]
	v_fma_f64 v[68:69], v[120:121], v[32:33], v[98:99]
	v_fma_f64 v[70:71], v[120:121], v[34:35], -v[100:101]
	scratch_load_b128 v[118:121], off, off offset:116 ; 16-byte Folded Reload
	v_fma_f64 v[74:75], v[136:137], v[42:43], -v[104:105]
	v_add_co_u32 v42, vcc_lo, v116, v83
	v_add_co_ci_u32_e32 v43, vcc_lo, v117, v84, vcc_lo
	v_mul_f64 v[32:33], v[89:90], s[0:1]
	s_delay_alu instid0(VALU_DEP_3) | instskip(NEXT) | instid1(VALU_DEP_3)
	v_add_co_u32 v78, vcc_lo, v42, s9
	v_add_co_ci_u32_e32 v79, vcc_lo, s8, v43, vcc_lo
	v_mul_f64 v[34:35], v[91:92], s[0:1]
	s_delay_alu instid0(VALU_DEP_3) | instskip(NEXT) | instid1(VALU_DEP_3)
	v_add_co_u32 v82, vcc_lo, v78, s12
	v_add_co_ci_u32_e32 v83, vcc_lo, s7, v79, vcc_lo
	v_fma_f64 v[72:73], v[136:137], v[40:41], v[102:103]
	s_delay_alu instid0(VALU_DEP_3) | instskip(NEXT) | instid1(VALU_DEP_3)
	v_add_co_u32 v97, vcc_lo, v82, s9
	v_add_co_ci_u32_e32 v98, vcc_lo, s8, v83, vcc_lo
	v_mul_f64 v[40:41], v[93:94], s[0:1]
	s_delay_alu instid0(VALU_DEP_3) | instskip(NEXT) | instid1(VALU_DEP_3)
	v_add_co_u32 v101, vcc_lo, v97, s12
	v_add_co_ci_u32_e32 v102, vcc_lo, s7, v98, vcc_lo
	v_fma_f64 v[48:49], v[130:131], v[48:49], v[112:113]
	v_fma_f64 v[50:51], v[130:131], v[50:51], -v[114:115]
	s_waitcnt vmcnt(1)
	v_mul_f64 v[106:107], v[124:125], v[38:39]
	v_mul_f64 v[108:109], v[124:125], v[36:37]
	scratch_load_b128 v[124:127], off, off offset:148 ; 16-byte Folded Reload
	s_waitcnt vmcnt(1) lgkmcnt(3)
	v_mul_f64 v[76:77], v[120:121], v[58:59]
	v_mul_f64 v[80:81], v[120:121], v[56:57]
	s_delay_alu instid0(VALU_DEP_2) | instskip(NEXT) | instid1(VALU_DEP_2)
	v_fma_f64 v[56:57], v[118:119], v[56:57], v[76:77]
	v_fma_f64 v[58:59], v[118:119], v[58:59], -v[80:81]
	s_waitcnt vmcnt(0)
	v_mul_f64 v[110:111], v[126:127], v[46:47]
	v_mul_f64 v[64:65], v[126:127], v[44:45]
	scratch_load_b128 v[126:129], off, off offset:164 ; 16-byte Folded Reload
	s_clause 0x3
	global_store_b128 v[42:43], v[8:11], off
	global_store_b128 v[78:79], v[12:15], off
	;; [unrolled: 1-line block ×4, first 2 shown]
	s_clause 0x1
	scratch_load_b128 v[88:91], off, off offset:68
	scratch_load_b128 v[82:85], off, off offset:20
	v_fma_f64 v[16:17], v[122:123], v[36:37], v[106:107]
	v_fma_f64 v[18:19], v[122:123], v[38:39], -v[108:109]
	v_mul_f64 v[42:43], v[66:67], s[0:1]
	v_mul_f64 v[8:9], v[68:69], s[0:1]
	;; [unrolled: 1-line block ×5, first 2 shown]
	v_add_co_u32 v70, vcc_lo, v101, s9
	v_add_co_ci_u32_e32 v71, vcc_lo, s8, v102, vcc_lo
	v_fma_f64 v[44:45], v[124:125], v[44:45], v[110:111]
	v_fma_f64 v[46:47], v[124:125], v[46:47], -v[64:65]
	s_delay_alu instid0(VALU_DEP_4) | instskip(NEXT) | instid1(VALU_DEP_4)
	v_add_co_u32 v64, vcc_lo, v70, s12
	v_add_co_ci_u32_e32 v65, vcc_lo, s7, v71, vcc_lo
	s_delay_alu instid0(VALU_DEP_2) | instskip(NEXT) | instid1(VALU_DEP_2)
	v_add_co_u32 v78, vcc_lo, v64, s9
	v_add_co_ci_u32_e32 v79, vcc_lo, s8, v65, vcc_lo
	s_delay_alu instid0(VALU_DEP_2) | instskip(NEXT) | instid1(VALU_DEP_2)
	v_add_co_u32 v76, vcc_lo, v78, s12
	v_add_co_ci_u32_e32 v77, vcc_lo, s7, v79, vcc_lo
	s_waitcnt vmcnt(2)
	v_mul_f64 v[99:100], v[128:129], v[52:53]
	v_mul_f64 v[95:96], v[128:129], v[54:55]
	s_waitcnt vmcnt(1) lgkmcnt(2)
	v_mul_f64 v[24:25], v[90:91], v[62:63]
	s_waitcnt vmcnt(0) lgkmcnt(1)
	v_mul_f64 v[36:37], v[84:85], v[2:3]
	v_mul_f64 v[38:39], v[84:85], v[0:1]
	scratch_load_b128 v[84:87], off, off offset:36 ; 16-byte Folded Reload
	v_mul_f64 v[26:27], v[90:91], v[60:61]
	scratch_load_b128 v[90:93], off, off offset:228 ; 16-byte Folded Reload
	global_store_b128 v[101:102], v[28:31], off
	global_store_b128 v[70:71], v[32:35], off
	;; [unrolled: 1-line block ×5, first 2 shown]
	v_mul_f64 v[10:11], v[18:19], s[0:1]
	v_mul_f64 v[12:13], v[56:57], s[0:1]
	;; [unrolled: 1-line block ×4, first 2 shown]
	scratch_load_b32 v56, off, off offset:16 ; 4-byte Folded Reload
	v_fma_f64 v[54:55], v[126:127], v[54:55], -v[99:100]
	v_fma_f64 v[52:53], v[126:127], v[52:53], v[95:96]
	v_fma_f64 v[24:25], v[88:89], v[60:61], v[24:25]
	;; [unrolled: 1-line block ×3, first 2 shown]
	v_fma_f64 v[30:31], v[82:83], v[2:3], -v[38:39]
	v_add_co_u32 v36, vcc_lo, v76, s9
	v_fma_f64 v[26:27], v[88:89], v[62:63], -v[26:27]
	v_add_co_ci_u32_e32 v37, vcc_lo, s8, v77, vcc_lo
	v_mul_f64 v[0:1], v[44:45], s[0:1]
	v_mul_f64 v[2:3], v[46:47], s[0:1]
	v_add_co_u32 v42, vcc_lo, v36, s12
	s_delay_alu instid0(VALU_DEP_4) | instskip(NEXT) | instid1(VALU_DEP_2)
	v_add_co_ci_u32_e32 v43, vcc_lo, s7, v37, vcc_lo
	v_add_co_u32 v44, vcc_lo, v42, s9
	s_delay_alu instid0(VALU_DEP_2) | instskip(NEXT) | instid1(VALU_DEP_2)
	v_add_co_ci_u32_e32 v45, vcc_lo, s8, v43, vcc_lo
	v_add_co_u32 v46, vcc_lo, v44, s12
	s_delay_alu instid0(VALU_DEP_2)
	v_add_co_ci_u32_e32 v47, vcc_lo, s7, v45, vcc_lo
	v_mul_f64 v[18:19], v[54:55], s[0:1]
	scratch_load_b32 v54, off, off offset:12 ; 4-byte Folded Reload
	v_mul_f64 v[16:17], v[52:53], s[0:1]
	s_waitcnt vmcnt(3)
	v_mul_f64 v[66:67], v[86:87], v[22:23]
	v_mul_f64 v[68:69], v[86:87], v[20:21]
	s_waitcnt vmcnt(2) lgkmcnt(0)
	v_mul_f64 v[72:73], v[92:93], v[6:7]
	v_mul_f64 v[74:75], v[92:93], v[4:5]
	s_waitcnt vmcnt(1)
	v_mad_u64_u32 v[52:53], null, s4, v56, 0
	v_fma_f64 v[32:33], v[84:85], v[20:21], v[66:67]
	v_fma_f64 v[34:35], v[84:85], v[22:23], -v[68:69]
	v_fma_f64 v[38:39], v[90:91], v[4:5], v[72:73]
	v_fma_f64 v[40:41], v[90:91], v[6:7], -v[74:75]
	v_mul_f64 v[4:5], v[48:49], s[0:1]
	v_mul_f64 v[6:7], v[50:51], s[0:1]
	;; [unrolled: 1-line block ×6, first 2 shown]
	v_add_co_u32 v50, vcc_lo, v46, s9
	v_add_co_ci_u32_e32 v51, vcc_lo, s8, v47, vcc_lo
	global_store_b128 v[36:37], v[8:11], off
	global_store_b128 v[42:43], v[0:3], off
	;; [unrolled: 1-line block ×3, first 2 shown]
	s_waitcnt vmcnt(0)
	v_mad_u64_u32 v[48:49], null, s4, v54, 0
	v_mul_f64 v[28:29], v[32:33], s[0:1]
	v_mul_f64 v[30:31], v[34:35], s[0:1]
	;; [unrolled: 1-line block ×4, first 2 shown]
	v_add_co_u32 v38, vcc_lo, v50, s12
	v_mad_u64_u32 v[40:41], null, s5, v54, v[49:50]
	v_add_co_ci_u32_e32 v39, vcc_lo, s7, v51, vcc_lo
	v_mad_u64_u32 v[54:55], null, s5, v56, v[53:54]
	global_store_b128 v[46:47], v[12:15], off
	v_mad_u64_u32 v[55:56], null, 0x2300, s4, v[38:39]
	v_mov_b32_e32 v49, v40
	global_store_b128 v[50:51], v[16:19], off
	v_mov_b32_e32 v53, v54
	v_lshlrev_b64 v[1:2], 4, v[48:49]
	v_mov_b32_e32 v0, v56
	s_delay_alu instid0(VALU_DEP_3) | instskip(NEXT) | instid1(VALU_DEP_2)
	v_lshlrev_b64 v[3:4], 4, v[52:53]
	v_mad_u64_u32 v[5:6], null, 0x2300, s5, v[0:1]
	v_add_co_u32 v0, vcc_lo, v116, v1
	v_add_co_ci_u32_e32 v1, vcc_lo, v117, v2, vcc_lo
	s_delay_alu instid0(VALU_DEP_4)
	v_add_co_u32 v2, vcc_lo, v116, v3
	v_add_co_ci_u32_e32 v3, vcc_lo, v117, v4, vcc_lo
	v_mov_b32_e32 v56, v5
	global_store_b128 v[38:39], v[20:23], off
	s_clause 0x1
	global_store_b128 v[0:1], v[24:27], off
	global_store_b128 v[2:3], v[28:31], off
	global_store_b128 v[55:56], v[32:35], off
.LBB0_10:
	s_nop 0
	s_sendmsg sendmsg(MSG_DEALLOC_VGPRS)
	s_endpgm
	.section	.rodata,"a",@progbits
	.p2align	6, 0x0
	.amdhsa_kernel bluestein_single_back_len1008_dim1_dp_op_CI_CI
		.amdhsa_group_segment_fixed_size 16128
		.amdhsa_private_segment_fixed_size 672
		.amdhsa_kernarg_size 104
		.amdhsa_user_sgpr_count 15
		.amdhsa_user_sgpr_dispatch_ptr 0
		.amdhsa_user_sgpr_queue_ptr 0
		.amdhsa_user_sgpr_kernarg_segment_ptr 1
		.amdhsa_user_sgpr_dispatch_id 0
		.amdhsa_user_sgpr_private_segment_size 0
		.amdhsa_wavefront_size32 1
		.amdhsa_uses_dynamic_stack 0
		.amdhsa_enable_private_segment 1
		.amdhsa_system_sgpr_workgroup_id_x 1
		.amdhsa_system_sgpr_workgroup_id_y 0
		.amdhsa_system_sgpr_workgroup_id_z 0
		.amdhsa_system_sgpr_workgroup_info 0
		.amdhsa_system_vgpr_workitem_id 0
		.amdhsa_next_free_vgpr 256
		.amdhsa_next_free_sgpr 28
		.amdhsa_reserve_vcc 1
		.amdhsa_float_round_mode_32 0
		.amdhsa_float_round_mode_16_64 0
		.amdhsa_float_denorm_mode_32 3
		.amdhsa_float_denorm_mode_16_64 3
		.amdhsa_dx10_clamp 1
		.amdhsa_ieee_mode 1
		.amdhsa_fp16_overflow 0
		.amdhsa_workgroup_processor_mode 1
		.amdhsa_memory_ordered 1
		.amdhsa_forward_progress 0
		.amdhsa_shared_vgpr_count 0
		.amdhsa_exception_fp_ieee_invalid_op 0
		.amdhsa_exception_fp_denorm_src 0
		.amdhsa_exception_fp_ieee_div_zero 0
		.amdhsa_exception_fp_ieee_overflow 0
		.amdhsa_exception_fp_ieee_underflow 0
		.amdhsa_exception_fp_ieee_inexact 0
		.amdhsa_exception_int_div_zero 0
	.end_amdhsa_kernel
	.text
.Lfunc_end0:
	.size	bluestein_single_back_len1008_dim1_dp_op_CI_CI, .Lfunc_end0-bluestein_single_back_len1008_dim1_dp_op_CI_CI
                                        ; -- End function
	.section	.AMDGPU.csdata,"",@progbits
; Kernel info:
; codeLenInByte = 28144
; NumSgprs: 30
; NumVgprs: 256
; ScratchSize: 672
; MemoryBound: 0
; FloatMode: 240
; IeeeMode: 1
; LDSByteSize: 16128 bytes/workgroup (compile time only)
; SGPRBlocks: 3
; VGPRBlocks: 31
; NumSGPRsForWavesPerEU: 30
; NumVGPRsForWavesPerEU: 256
; Occupancy: 4
; WaveLimiterHint : 1
; COMPUTE_PGM_RSRC2:SCRATCH_EN: 1
; COMPUTE_PGM_RSRC2:USER_SGPR: 15
; COMPUTE_PGM_RSRC2:TRAP_HANDLER: 0
; COMPUTE_PGM_RSRC2:TGID_X_EN: 1
; COMPUTE_PGM_RSRC2:TGID_Y_EN: 0
; COMPUTE_PGM_RSRC2:TGID_Z_EN: 0
; COMPUTE_PGM_RSRC2:TIDIG_COMP_CNT: 0
	.text
	.p2alignl 7, 3214868480
	.fill 96, 4, 3214868480
	.type	__hip_cuid_bdafd8af5260866f,@object ; @__hip_cuid_bdafd8af5260866f
	.section	.bss,"aw",@nobits
	.globl	__hip_cuid_bdafd8af5260866f
__hip_cuid_bdafd8af5260866f:
	.byte	0                               ; 0x0
	.size	__hip_cuid_bdafd8af5260866f, 1

	.ident	"AMD clang version 19.0.0git (https://github.com/RadeonOpenCompute/llvm-project roc-6.4.0 25133 c7fe45cf4b819c5991fe208aaa96edf142730f1d)"
	.section	".note.GNU-stack","",@progbits
	.addrsig
	.addrsig_sym __hip_cuid_bdafd8af5260866f
	.amdgpu_metadata
---
amdhsa.kernels:
  - .args:
      - .actual_access:  read_only
        .address_space:  global
        .offset:         0
        .size:           8
        .value_kind:     global_buffer
      - .actual_access:  read_only
        .address_space:  global
        .offset:         8
        .size:           8
        .value_kind:     global_buffer
      - .actual_access:  read_only
        .address_space:  global
        .offset:         16
        .size:           8
        .value_kind:     global_buffer
      - .actual_access:  read_only
        .address_space:  global
        .offset:         24
        .size:           8
        .value_kind:     global_buffer
      - .actual_access:  read_only
        .address_space:  global
        .offset:         32
        .size:           8
        .value_kind:     global_buffer
      - .offset:         40
        .size:           8
        .value_kind:     by_value
      - .address_space:  global
        .offset:         48
        .size:           8
        .value_kind:     global_buffer
      - .address_space:  global
        .offset:         56
        .size:           8
        .value_kind:     global_buffer
      - .address_space:  global
        .offset:         64
        .size:           8
        .value_kind:     global_buffer
      - .address_space:  global
        .offset:         72
        .size:           8
        .value_kind:     global_buffer
      - .offset:         80
        .size:           4
        .value_kind:     by_value
      - .address_space:  global
        .offset:         88
        .size:           8
        .value_kind:     global_buffer
      - .address_space:  global
        .offset:         96
        .size:           8
        .value_kind:     global_buffer
    .group_segment_fixed_size: 16128
    .kernarg_segment_align: 8
    .kernarg_segment_size: 104
    .language:       OpenCL C
    .language_version:
      - 2
      - 0
    .max_flat_workgroup_size: 56
    .name:           bluestein_single_back_len1008_dim1_dp_op_CI_CI
    .private_segment_fixed_size: 672
    .sgpr_count:     30
    .sgpr_spill_count: 0
    .symbol:         bluestein_single_back_len1008_dim1_dp_op_CI_CI.kd
    .uniform_work_group_size: 1
    .uses_dynamic_stack: false
    .vgpr_count:     256
    .vgpr_spill_count: 167
    .wavefront_size: 32
    .workgroup_processor_mode: 1
amdhsa.target:   amdgcn-amd-amdhsa--gfx1100
amdhsa.version:
  - 1
  - 2
...

	.end_amdgpu_metadata
